;; amdgpu-corpus repo=ROCm/rocFFT kind=compiled arch=gfx906 opt=O3
	.text
	.amdgcn_target "amdgcn-amd-amdhsa--gfx906"
	.amdhsa_code_object_version 6
	.protected	fft_rtc_fwd_len1920_factors_10_6_16_2_wgs_240_tpt_120_halfLds_half_ip_CI_unitstride_sbrr_R2C_dirReg ; -- Begin function fft_rtc_fwd_len1920_factors_10_6_16_2_wgs_240_tpt_120_halfLds_half_ip_CI_unitstride_sbrr_R2C_dirReg
	.globl	fft_rtc_fwd_len1920_factors_10_6_16_2_wgs_240_tpt_120_halfLds_half_ip_CI_unitstride_sbrr_R2C_dirReg
	.p2align	8
	.type	fft_rtc_fwd_len1920_factors_10_6_16_2_wgs_240_tpt_120_halfLds_half_ip_CI_unitstride_sbrr_R2C_dirReg,@function
fft_rtc_fwd_len1920_factors_10_6_16_2_wgs_240_tpt_120_halfLds_half_ip_CI_unitstride_sbrr_R2C_dirReg: ; @fft_rtc_fwd_len1920_factors_10_6_16_2_wgs_240_tpt_120_halfLds_half_ip_CI_unitstride_sbrr_R2C_dirReg
; %bb.0:
	s_load_dwordx2 s[12:13], s[4:5], 0x50
	s_load_dwordx4 s[8:11], s[4:5], 0x0
	s_load_dwordx2 s[2:3], s[4:5], 0x18
	v_mul_u32_u24_e32 v1, 0x223, v0
	v_lshrrev_b32_e32 v9, 16, v1
	v_mov_b32_e32 v3, 0
	s_waitcnt lgkmcnt(0)
	v_cmp_lt_u64_e64 s[0:1], s[10:11], 2
	v_mov_b32_e32 v1, 0
	v_lshl_add_u32 v5, s6, 1, v9
	v_mov_b32_e32 v6, v3
	s_and_b64 vcc, exec, s[0:1]
	v_mov_b32_e32 v2, 0
	s_cbranch_vccnz .LBB0_8
; %bb.1:
	s_load_dwordx2 s[0:1], s[4:5], 0x10
	s_add_u32 s6, s2, 8
	s_addc_u32 s7, s3, 0
	v_mov_b32_e32 v1, 0
	v_mov_b32_e32 v2, 0
	s_waitcnt lgkmcnt(0)
	s_add_u32 s14, s0, 8
	s_addc_u32 s15, s1, 0
	s_mov_b64 s[16:17], 1
.LBB0_2:                                ; =>This Inner Loop Header: Depth=1
	s_load_dwordx2 s[18:19], s[14:15], 0x0
                                        ; implicit-def: $vgpr7_vgpr8
	s_waitcnt lgkmcnt(0)
	v_or_b32_e32 v4, s19, v6
	v_cmp_ne_u64_e32 vcc, 0, v[3:4]
	s_and_saveexec_b64 s[0:1], vcc
	s_xor_b64 s[20:21], exec, s[0:1]
	s_cbranch_execz .LBB0_4
; %bb.3:                                ;   in Loop: Header=BB0_2 Depth=1
	v_cvt_f32_u32_e32 v4, s18
	v_cvt_f32_u32_e32 v7, s19
	s_sub_u32 s0, 0, s18
	s_subb_u32 s1, 0, s19
	v_mac_f32_e32 v4, 0x4f800000, v7
	v_rcp_f32_e32 v4, v4
	v_mul_f32_e32 v4, 0x5f7ffffc, v4
	v_mul_f32_e32 v7, 0x2f800000, v4
	v_trunc_f32_e32 v7, v7
	v_mac_f32_e32 v4, 0xcf800000, v7
	v_cvt_u32_f32_e32 v7, v7
	v_cvt_u32_f32_e32 v4, v4
	v_mul_lo_u32 v8, s0, v7
	v_mul_hi_u32 v10, s0, v4
	v_mul_lo_u32 v12, s1, v4
	v_mul_lo_u32 v11, s0, v4
	v_add_u32_e32 v8, v10, v8
	v_add_u32_e32 v8, v8, v12
	v_mul_hi_u32 v10, v4, v11
	v_mul_lo_u32 v12, v4, v8
	v_mul_hi_u32 v14, v4, v8
	v_mul_hi_u32 v13, v7, v11
	v_mul_lo_u32 v11, v7, v11
	v_mul_hi_u32 v15, v7, v8
	v_add_co_u32_e32 v10, vcc, v10, v12
	v_addc_co_u32_e32 v12, vcc, 0, v14, vcc
	v_mul_lo_u32 v8, v7, v8
	v_add_co_u32_e32 v10, vcc, v10, v11
	v_addc_co_u32_e32 v10, vcc, v12, v13, vcc
	v_addc_co_u32_e32 v11, vcc, 0, v15, vcc
	v_add_co_u32_e32 v8, vcc, v10, v8
	v_addc_co_u32_e32 v10, vcc, 0, v11, vcc
	v_add_co_u32_e32 v4, vcc, v4, v8
	v_addc_co_u32_e32 v7, vcc, v7, v10, vcc
	v_mul_lo_u32 v8, s0, v7
	v_mul_hi_u32 v10, s0, v4
	v_mul_lo_u32 v11, s1, v4
	v_mul_lo_u32 v12, s0, v4
	v_add_u32_e32 v8, v10, v8
	v_add_u32_e32 v8, v8, v11
	v_mul_lo_u32 v13, v4, v8
	v_mul_hi_u32 v14, v4, v12
	v_mul_hi_u32 v15, v4, v8
	;; [unrolled: 1-line block ×3, first 2 shown]
	v_mul_lo_u32 v12, v7, v12
	v_mul_hi_u32 v10, v7, v8
	v_add_co_u32_e32 v13, vcc, v14, v13
	v_addc_co_u32_e32 v14, vcc, 0, v15, vcc
	v_mul_lo_u32 v8, v7, v8
	v_add_co_u32_e32 v12, vcc, v13, v12
	v_addc_co_u32_e32 v11, vcc, v14, v11, vcc
	v_addc_co_u32_e32 v10, vcc, 0, v10, vcc
	v_add_co_u32_e32 v8, vcc, v11, v8
	v_addc_co_u32_e32 v10, vcc, 0, v10, vcc
	v_add_co_u32_e32 v4, vcc, v4, v8
	v_addc_co_u32_e32 v10, vcc, v7, v10, vcc
	v_mad_u64_u32 v[7:8], s[0:1], v5, v10, 0
	v_mul_hi_u32 v11, v5, v4
	v_add_co_u32_e32 v12, vcc, v11, v7
	v_addc_co_u32_e32 v13, vcc, 0, v8, vcc
	v_mad_u64_u32 v[7:8], s[0:1], v6, v4, 0
	v_mad_u64_u32 v[10:11], s[0:1], v6, v10, 0
	v_add_co_u32_e32 v4, vcc, v12, v7
	v_addc_co_u32_e32 v4, vcc, v13, v8, vcc
	v_addc_co_u32_e32 v7, vcc, 0, v11, vcc
	v_add_co_u32_e32 v4, vcc, v4, v10
	v_addc_co_u32_e32 v10, vcc, 0, v7, vcc
	v_mul_lo_u32 v11, s19, v4
	v_mul_lo_u32 v12, s18, v10
	v_mad_u64_u32 v[7:8], s[0:1], s18, v4, 0
	v_add3_u32 v8, v8, v12, v11
	v_sub_u32_e32 v11, v6, v8
	v_mov_b32_e32 v12, s19
	v_sub_co_u32_e32 v7, vcc, v5, v7
	v_subb_co_u32_e64 v11, s[0:1], v11, v12, vcc
	v_subrev_co_u32_e64 v12, s[0:1], s18, v7
	v_subbrev_co_u32_e64 v11, s[0:1], 0, v11, s[0:1]
	v_cmp_le_u32_e64 s[0:1], s19, v11
	v_cndmask_b32_e64 v13, 0, -1, s[0:1]
	v_cmp_le_u32_e64 s[0:1], s18, v12
	v_cndmask_b32_e64 v12, 0, -1, s[0:1]
	v_cmp_eq_u32_e64 s[0:1], s19, v11
	v_cndmask_b32_e64 v11, v13, v12, s[0:1]
	v_add_co_u32_e64 v12, s[0:1], 2, v4
	v_addc_co_u32_e64 v13, s[0:1], 0, v10, s[0:1]
	v_add_co_u32_e64 v14, s[0:1], 1, v4
	v_addc_co_u32_e64 v15, s[0:1], 0, v10, s[0:1]
	v_subb_co_u32_e32 v8, vcc, v6, v8, vcc
	v_cmp_ne_u32_e64 s[0:1], 0, v11
	v_cmp_le_u32_e32 vcc, s19, v8
	v_cndmask_b32_e64 v11, v15, v13, s[0:1]
	v_cndmask_b32_e64 v13, 0, -1, vcc
	v_cmp_le_u32_e32 vcc, s18, v7
	v_cndmask_b32_e64 v7, 0, -1, vcc
	v_cmp_eq_u32_e32 vcc, s19, v8
	v_cndmask_b32_e32 v7, v13, v7, vcc
	v_cmp_ne_u32_e32 vcc, 0, v7
	v_cndmask_b32_e64 v7, v14, v12, s[0:1]
	v_cndmask_b32_e32 v8, v10, v11, vcc
	v_cndmask_b32_e32 v7, v4, v7, vcc
.LBB0_4:                                ;   in Loop: Header=BB0_2 Depth=1
	s_andn2_saveexec_b64 s[0:1], s[20:21]
	s_cbranch_execz .LBB0_6
; %bb.5:                                ;   in Loop: Header=BB0_2 Depth=1
	v_cvt_f32_u32_e32 v4, s18
	s_sub_i32 s20, 0, s18
	v_rcp_iflag_f32_e32 v4, v4
	v_mul_f32_e32 v4, 0x4f7ffffe, v4
	v_cvt_u32_f32_e32 v4, v4
	v_mul_lo_u32 v7, s20, v4
	v_mul_hi_u32 v7, v4, v7
	v_add_u32_e32 v4, v4, v7
	v_mul_hi_u32 v4, v5, v4
	v_mul_lo_u32 v7, v4, s18
	v_add_u32_e32 v8, 1, v4
	v_sub_u32_e32 v7, v5, v7
	v_subrev_u32_e32 v10, s18, v7
	v_cmp_le_u32_e32 vcc, s18, v7
	v_cndmask_b32_e32 v7, v7, v10, vcc
	v_cndmask_b32_e32 v4, v4, v8, vcc
	v_add_u32_e32 v8, 1, v4
	v_cmp_le_u32_e32 vcc, s18, v7
	v_cndmask_b32_e32 v7, v4, v8, vcc
	v_mov_b32_e32 v8, v3
.LBB0_6:                                ;   in Loop: Header=BB0_2 Depth=1
	s_or_b64 exec, exec, s[0:1]
	v_mul_lo_u32 v4, v8, s18
	v_mul_lo_u32 v12, v7, s19
	v_mad_u64_u32 v[10:11], s[0:1], v7, s18, 0
	s_load_dwordx2 s[0:1], s[6:7], 0x0
	s_add_u32 s16, s16, 1
	v_add3_u32 v4, v11, v12, v4
	v_sub_co_u32_e32 v5, vcc, v5, v10
	v_subb_co_u32_e32 v4, vcc, v6, v4, vcc
	s_waitcnt lgkmcnt(0)
	v_mul_lo_u32 v4, s0, v4
	v_mul_lo_u32 v6, s1, v5
	v_mad_u64_u32 v[1:2], s[0:1], s0, v5, v[1:2]
	s_addc_u32 s17, s17, 0
	s_add_u32 s6, s6, 8
	v_add3_u32 v2, v6, v2, v4
	v_mov_b32_e32 v4, s10
	v_mov_b32_e32 v5, s11
	s_addc_u32 s7, s7, 0
	v_cmp_ge_u64_e32 vcc, s[16:17], v[4:5]
	s_add_u32 s14, s14, 8
	s_addc_u32 s15, s15, 0
	s_cbranch_vccnz .LBB0_9
; %bb.7:                                ;   in Loop: Header=BB0_2 Depth=1
	v_mov_b32_e32 v5, v7
	v_mov_b32_e32 v6, v8
	s_branch .LBB0_2
.LBB0_8:
	v_mov_b32_e32 v8, v6
	v_mov_b32_e32 v7, v5
.LBB0_9:
	s_lshl_b64 s[0:1], s[10:11], 3
	s_add_u32 s0, s2, s0
	s_addc_u32 s1, s3, s1
	s_load_dwordx2 s[2:3], s[0:1], 0x0
	s_load_dwordx2 s[6:7], s[4:5], 0x20
	v_and_b32_e32 v5, 1, v9
	s_waitcnt lgkmcnt(0)
	v_mul_lo_u32 v3, s2, v8
	v_mul_lo_u32 v4, s3, v7
	v_mad_u64_u32 v[1:2], s[0:1], s2, v7, v[1:2]
	s_mov_b32 s2, 0x2222223
	v_cmp_gt_u64_e32 vcc, s[6:7], v[7:8]
	v_add3_u32 v2, v4, v2, v3
	v_mul_hi_u32 v4, v0, s2
	v_cmp_le_u64_e64 s[2:3], s[6:7], v[7:8]
	v_cmp_eq_u32_e64 s[0:1], 1, v5
	v_mov_b32_e32 v3, 0x781
	v_mul_u32_u24_e32 v4, 0x78, v4
	v_sub_u32_e32 v0, v0, v4
                                        ; implicit-def: $vgpr4
	s_and_saveexec_b64 s[4:5], s[2:3]
	s_xor_b64 s[2:3], exec, s[4:5]
; %bb.10:
	v_add_u32_e32 v4, 0x78, v0
; %bb.11:
	s_or_saveexec_b64 s[2:3], s[2:3]
	v_cndmask_b32_e64 v5, 0, v3, s[0:1]
	v_lshlrev_b64 v[2:3], 2, v[1:2]
	v_lshlrev_b32_e32 v24, 2, v5
	v_lshlrev_b32_e32 v22, 2, v0
	s_xor_b64 exec, exec, s[2:3]
	s_cbranch_execz .LBB0_13
; %bb.12:
	v_mov_b32_e32 v1, 0
	v_mov_b32_e32 v4, s13
	v_add_co_u32_e64 v6, s[0:1], s12, v2
	v_addc_co_u32_e64 v7, s[0:1], v4, v3, s[0:1]
	v_lshlrev_b64 v[4:5], 2, v[0:1]
	v_add_co_u32_e64 v4, s[0:1], v6, v4
	v_addc_co_u32_e64 v5, s[0:1], v7, v5, s[0:1]
	s_movk_i32 s0, 0x1000
	v_add_co_u32_e64 v6, s[0:1], s0, v4
	global_load_dword v1, v[4:5], off
	global_load_dword v8, v[4:5], off offset:1440
	global_load_dword v9, v[4:5], off offset:1920
	;; [unrolled: 1-line block ×7, first 2 shown]
	v_addc_co_u32_e64 v7, s[0:1], 0, v5, s[0:1]
	global_load_dword v15, v[4:5], off offset:3840
	global_load_dword v16, v[6:7], off offset:224
	;; [unrolled: 1-line block ×8, first 2 shown]
	v_add3_u32 v5, 0, v24, v22
	v_add_u32_e32 v4, 0x78, v0
	v_add_u32_e32 v6, 0x200, v5
	;; [unrolled: 1-line block ×8, first 2 shown]
	s_waitcnt vmcnt(9)
	ds_write2_b32 v6, v13, v8 offset0:112 offset1:232
	ds_write2_b32 v7, v9, v10 offset0:96 offset1:216
	;; [unrolled: 1-line block ×3, first 2 shown]
	s_waitcnt vmcnt(8)
	ds_write2_b32 v5, v1, v14 offset1:120
	s_waitcnt vmcnt(6)
	ds_write2_b32 v26, v15, v16 offset0:64 offset1:184
	s_waitcnt vmcnt(4)
	ds_write2_b32 v27, v17, v18 offset0:48 offset1:168
	;; [unrolled: 2-line block ×4, first 2 shown]
.LBB0_13:
	s_or_b64 exec, exec, s[2:3]
	v_add_u32_e32 v1, 0, v22
	v_add_u32_e32 v23, v1, v24
	v_add_u32_e32 v13, 0x400, v23
	v_add_u32_e32 v7, 0x1000, v23
	v_add_u32_e32 v9, 0x1600, v23
	s_waitcnt lgkmcnt(0)
	s_barrier
	ds_read2_b32 v[5:6], v13 offset0:56 offset1:128
	v_add_u32_e32 v1, 0xa00, v23
	ds_read2_b32 v[7:8], v7 offset0:56 offset1:128
	ds_read2_b32 v[9:10], v9 offset0:56 offset1:128
	;; [unrolled: 1-line block ×3, first 2 shown]
	v_add_u32_e32 v1, 0x600, v23
	v_add_u32_e32 v26, 0x1800, v23
	ds_read2_b32 v[14:15], v1 offset0:120 offset1:192
	s_waitcnt lgkmcnt(2)
	v_sub_f16_e32 v16, v10, v8
	s_waitcnt lgkmcnt(1)
	v_sub_f16_e32 v17, v6, v12
	v_add_f16_e32 v20, v17, v16
	v_add_u32_e32 v16, 0x1200, v23
	v_add_u32_e32 v1, 0xc00, v23
	ds_read2_b32 v[16:17], v16 offset0:120 offset1:192
	ds_read2_b32 v[18:19], v26 offset0:120 offset1:192
	;; [unrolled: 1-line block ×4, first 2 shown]
	v_sub_f16_sdwa v1, v6, v12 dst_sel:DWORD dst_unused:UNUSED_PAD src0_sel:WORD_1 src1_sel:WORD_1
	v_sub_f16_sdwa v21, v10, v8 dst_sel:DWORD dst_unused:UNUSED_PAD src0_sel:WORD_1 src1_sel:WORD_1
	v_add_f16_e32 v1, v1, v21
	s_waitcnt lgkmcnt(2)
	v_sub_f16_e32 v21, v19, v17
	s_waitcnt lgkmcnt(1)
	v_sub_f16_e32 v25, v15, v28
	v_add_f16_e32 v31, v25, v21
	v_sub_f16_sdwa v21, v15, v28 dst_sel:DWORD dst_unused:UNUSED_PAD src0_sel:WORD_1 src1_sel:WORD_1
	v_sub_f16_sdwa v25, v19, v17 dst_sel:DWORD dst_unused:UNUSED_PAD src0_sel:WORD_1 src1_sel:WORD_1
	v_add_f16_e32 v32, v21, v25
	v_add_f16_e32 v21, v28, v17
	s_movk_i32 s1, 0x3b9c
	s_waitcnt lgkmcnt(0)
	v_fma_f16 v33, v21, -0.5, v30
	v_sub_f16_sdwa v34, v15, v19 dst_sel:DWORD dst_unused:UNUSED_PAD src0_sel:WORD_1 src1_sel:WORD_1
	s_movk_i32 s0, 0x38b4
	v_fma_f16 v21, v34, s1, v33
	v_sub_f16_sdwa v35, v28, v17 dst_sel:DWORD dst_unused:UNUSED_PAD src0_sel:WORD_1 src1_sel:WORD_1
	s_movk_i32 s3, 0x34f2
	v_fma_f16 v21, v35, s0, v21
	v_fma_f16 v36, v31, s3, v21
	v_add_f16_sdwa v21, v28, v17 dst_sel:DWORD dst_unused:UNUSED_PAD src0_sel:WORD_1 src1_sel:WORD_1
	v_lshrrev_b32_e32 v37, 16, v30
	s_mov_b32 s4, 0xbb9c
	v_fma_f16 v38, v21, -0.5, v37
	v_sub_f16_e32 v39, v15, v19
	s_mov_b32 s2, 0xb8b4
	v_fma_f16 v21, v39, s4, v38
	v_sub_f16_e32 v40, v28, v17
	v_fma_f16 v21, v40, s2, v21
	v_fma_f16 v41, v32, s3, v21
	v_mul_f16_e32 v21, 0x3a79, v36
	v_add_u32_e32 v25, 0, v24
	v_fma_f16 v42, v41, s0, v21
	v_add_u32_e32 v21, v25, v22
	ds_read_b32 v43, v21
	ds_read_b32 v44, v23 offset:7392
	s_movk_i32 s5, 0x3a79
	v_mul_f16_e32 v36, 0xb8b4, v36
	v_fma_f16 v36, v41, s5, v36
	v_add_f16_e32 v41, v12, v8
	v_add_f16_sdwa v48, v12, v8 dst_sel:DWORD dst_unused:UNUSED_PAD src0_sel:WORD_1 src1_sel:WORD_1
	s_waitcnt lgkmcnt(1)
	v_lshrrev_b32_e32 v49, 16, v43
	v_fma_f16 v41, v41, -0.5, v43
	v_sub_f16_sdwa v45, v6, v10 dst_sel:DWORD dst_unused:UNUSED_PAD src0_sel:WORD_1 src1_sel:WORD_1
	v_fma_f16 v48, v48, -0.5, v49
	v_sub_f16_e32 v50, v6, v10
	v_fma_f16 v46, v45, s1, v41
	v_sub_f16_sdwa v47, v12, v8 dst_sel:DWORD dst_unused:UNUSED_PAD src0_sel:WORD_1 src1_sel:WORD_1
	v_fma_f16 v51, v50, s4, v48
	v_sub_f16_e32 v52, v12, v8
	v_fma_f16 v46, v47, s0, v46
	v_fma_f16 v51, v52, s2, v51
	;; [unrolled: 1-line block ×4, first 2 shown]
	v_add_f16_e32 v53, v46, v42
	v_add_f16_e32 v54, v51, v36
	v_pack_b32_f16 v53, v53, v54
	v_pk_add_f16 v54, v43, v6
	v_pk_add_f16 v55, v30, v15
	;; [unrolled: 1-line block ×8, first 2 shown]
	v_mad_u32_u24 v56, v0, 36, v23
	v_pk_add_f16 v57, v54, v55
	s_waitcnt lgkmcnt(0)
	s_barrier
	ds_write2_b32 v56, v57, v53 offset1:1
	v_add_f16_e32 v53, v6, v10
	v_fma_f16 v43, v53, -0.5, v43
	v_sub_f16_e32 v53, v8, v10
	v_sub_f16_e32 v57, v12, v6
	v_add_f16_e32 v53, v57, v53
	v_fma_f16 v57, v47, s4, v43
	v_fma_f16 v43, v47, s1, v43
	v_fma_f16 v57, v45, s0, v57
	v_fma_f16 v43, v45, s2, v43
	v_fma_f16 v57, v53, s3, v57
	v_fma_f16 v43, v53, s3, v43
	v_add_f16_sdwa v53, v6, v10 dst_sel:DWORD dst_unused:UNUSED_PAD src0_sel:WORD_1 src1_sel:WORD_1
	v_fma_f16 v49, v53, -0.5, v49
	v_sub_f16_sdwa v6, v12, v6 dst_sel:DWORD dst_unused:UNUSED_PAD src0_sel:WORD_1 src1_sel:WORD_1
	v_sub_f16_sdwa v8, v8, v10 dst_sel:DWORD dst_unused:UNUSED_PAD src0_sel:WORD_1 src1_sel:WORD_1
	v_add_f16_e32 v6, v6, v8
	v_fma_f16 v8, v52, s1, v49
	v_fma_f16 v10, v52, s4, v49
	;; [unrolled: 1-line block ×6, first 2 shown]
	v_sub_f16_e32 v10, v17, v19
	v_sub_f16_e32 v12, v28, v15
	v_add_f16_e32 v10, v12, v10
	v_add_f16_e32 v12, v15, v19
	v_fma_f16 v12, v12, -0.5, v30
	v_fma_f16 v30, v35, s4, v12
	v_fma_f16 v12, v35, s1, v12
	;; [unrolled: 1-line block ×6, first 2 shown]
	v_add_f16_sdwa v12, v15, v19 dst_sel:DWORD dst_unused:UNUSED_PAD src0_sel:WORD_1 src1_sel:WORD_1
	v_fma_f16 v12, v12, -0.5, v37
	v_sub_f16_sdwa v15, v28, v15 dst_sel:DWORD dst_unused:UNUSED_PAD src0_sel:WORD_1 src1_sel:WORD_1
	v_sub_f16_sdwa v17, v17, v19 dst_sel:DWORD dst_unused:UNUSED_PAD src0_sel:WORD_1 src1_sel:WORD_1
	v_add_f16_e32 v15, v15, v17
	v_fma_f16 v17, v40, s1, v12
	v_fma_f16 v17, v39, s2, v17
	;; [unrolled: 1-line block ×5, first 2 shown]
	v_mul_f16_e32 v19, 0xbb9c, v30
	v_fma_f16 v12, v15, s3, v12
	v_mul_f16_e32 v15, 0x3b9c, v17
	v_fma_f16 v17, v17, s3, v19
	v_mul_f16_e32 v19, 0x34f2, v10
	v_fma_f16 v19, v12, s1, -v19
	v_mul_f16_e32 v12, 0x34f2, v12
	v_fma_f16 v10, v10, s4, -v12
	v_fma_f16 v15, v30, s3, v15
	v_add_f16_e32 v12, v43, v19
	v_add_f16_e32 v28, v6, v10
	v_pack_b32_f16 v12, v12, v28
	v_add_f16_e32 v28, v57, v15
	v_add_f16_e32 v30, v8, v17
	v_pack_b32_f16 v28, v28, v30
	ds_write2_b32 v56, v28, v12 offset0:2 offset1:3
	v_fma_f16 v12, v45, s4, v41
	v_fma_f16 v12, v47, s2, v12
	;; [unrolled: 1-line block ×12, first 2 shown]
	v_mul_f16_e32 v30, 0x3a79, v20
	v_fma_f16 v30, v28, s0, -v30
	v_mul_f16_e32 v28, 0x3a79, v28
	v_fma_f16 v20, v20, s2, -v28
	v_add_f16_e32 v31, v12, v30
	v_add_f16_e32 v32, v1, v20
	v_pk_add_f16 v28, v54, v55 neg_lo:[0,1] neg_hi:[0,1]
	v_pack_b32_f16 v31, v31, v32
	ds_write2_b32 v56, v31, v28 offset0:4 offset1:5
	v_sub_f16_e32 v28, v46, v42
	v_sub_f16_e32 v15, v57, v15
	v_sub_f16_e32 v31, v51, v36
	v_sub_f16_e32 v8, v8, v17
	v_pack_b32_f16 v17, v28, v31
	v_pack_b32_f16 v8, v15, v8
	ds_write2_b32 v56, v17, v8 offset0:6 offset1:7
	v_sub_f16_e32 v8, v43, v19
	v_sub_f16_e32 v12, v12, v30
	;; [unrolled: 1-line block ×4, first 2 shown]
	v_pack_b32_f16 v1, v12, v1
	v_pack_b32_f16 v6, v8, v6
	ds_write2_b32 v56, v6, v1 offset0:8 offset1:9
	v_pk_add_f16 v1, v29, v14
	v_pk_add_f16 v1, v1, v27
	v_add_f16_e32 v6, v27, v16
	v_sub_f16_sdwa v8, v27, v16 dst_sel:DWORD dst_unused:UNUSED_PAD src0_sel:WORD_1 src1_sel:WORD_1
	v_sub_f16_e32 v10, v14, v27
	v_sub_f16_e32 v17, v27, v14
	v_add_f16_sdwa v19, v27, v16 dst_sel:DWORD dst_unused:UNUSED_PAD src0_sel:WORD_1 src1_sel:WORD_1
	v_sub_f16_e32 v20, v27, v16
	v_sub_f16_sdwa v28, v14, v27 dst_sel:DWORD dst_unused:UNUSED_PAD src0_sel:WORD_1 src1_sel:WORD_1
	v_sub_f16_sdwa v27, v27, v14 dst_sel:DWORD dst_unused:UNUSED_PAD src0_sel:WORD_1 src1_sel:WORD_1
	;; [unrolled: 1-line block ×3, first 2 shown]
	v_add_f16_e32 v31, v14, v18
	v_sub_f16_e32 v32, v14, v18
	v_add_f16_sdwa v33, v14, v18 dst_sel:DWORD dst_unused:UNUSED_PAD src0_sel:WORD_1 src1_sel:WORD_1
	v_pk_add_f16 v1, v1, v16
	v_sub_f16_e32 v14, v18, v16
	v_fma_f16 v6, v6, -0.5, v29
	v_pk_add_f16 v12, v1, v18
	v_add_f16_e32 v1, v10, v14
	v_fma_f16 v10, v30, s1, v6
	v_fma_f16 v6, v30, s4, v6
	;; [unrolled: 1-line block ×5, first 2 shown]
	v_fma_f16 v6, v31, -0.5, v29
	v_sub_f16_e32 v34, v16, v18
	v_fma_f16 v14, v1, s3, v10
	v_fma_f16 v10, v8, s4, v6
	;; [unrolled: 1-line block ×3, first 2 shown]
	v_add_f16_e32 v1, v17, v34
	v_fma_f16 v8, v30, s0, v10
	v_fma_f16 v6, v30, s2, v6
	v_sub_f16_sdwa v35, v18, v16 dst_sel:DWORD dst_unused:UNUSED_PAD src0_sel:WORD_1 src1_sel:WORD_1
	v_sub_f16_sdwa v36, v16, v18 dst_sel:DWORD dst_unused:UNUSED_PAD src0_sel:WORD_1 src1_sel:WORD_1
	v_fma_f16 v8, v1, s3, v8
	v_fma_f16 v16, v1, s3, v6
	v_lshrrev_b32_e32 v1, 16, v29
	v_fma_f16 v10, v19, -0.5, v1
	v_fma_f16 v17, v32, s4, v10
	v_fma_f16 v10, v32, s1, v10
	v_add_f16_e32 v6, v28, v35
	v_fma_f16 v10, v20, s0, v10
	v_fma_f16 v1, v33, -0.5, v1
	v_fma_f16 v17, v20, s2, v17
	v_fma_f16 v18, v6, s3, v10
	;; [unrolled: 1-line block ×5, first 2 shown]
	v_add_f16_e32 v6, v27, v36
	v_fma_f16 v10, v32, s2, v10
	v_fma_f16 v1, v32, s0, v1
	;; [unrolled: 1-line block ×4, first 2 shown]
	v_sub_f16_e32 v1, v44, v9
	v_sub_f16_e32 v6, v11, v7
	v_add_f16_e32 v1, v6, v1
	v_add_f16_e32 v6, v7, v9
	v_fma_f16 v6, v6, -0.5, v5
	v_sub_f16_sdwa v20, v11, v44 dst_sel:DWORD dst_unused:UNUSED_PAD src0_sel:WORD_1 src1_sel:WORD_1
	v_fma_f16 v27, v20, s1, v6
	v_sub_f16_sdwa v28, v7, v9 dst_sel:DWORD dst_unused:UNUSED_PAD src0_sel:WORD_1 src1_sel:WORD_1
	v_fma_f16 v6, v20, s4, v6
	v_fma_f16 v27, v28, s0, v27
	;; [unrolled: 1-line block ×5, first 2 shown]
	v_sub_f16_e32 v6, v9, v44
	v_sub_f16_e32 v29, v7, v11
	v_add_f16_e32 v6, v29, v6
	v_add_f16_e32 v29, v11, v44
	v_fma_f16 v29, v29, -0.5, v5
	v_fma_f16 v30, v28, s4, v29
	v_fma_f16 v28, v28, s1, v29
	;; [unrolled: 1-line block ×6, first 2 shown]
	v_pk_add_f16 v20, v5, v11
	v_pk_add_f16 v20, v20, v7
	v_add_f16_sdwa v29, v7, v9 dst_sel:DWORD dst_unused:UNUSED_PAD src0_sel:WORD_1 src1_sel:WORD_1
	v_add_f16_sdwa v33, v11, v44 dst_sel:DWORD dst_unused:UNUSED_PAD src0_sel:WORD_1 src1_sel:WORD_1
	v_lshrrev_b32_e32 v5, 16, v5
	v_sub_f16_e32 v30, v7, v9
	v_sub_f16_sdwa v31, v11, v7 dst_sel:DWORD dst_unused:UNUSED_PAD src0_sel:WORD_1 src1_sel:WORD_1
	v_sub_f16_sdwa v7, v7, v11 dst_sel:DWORD dst_unused:UNUSED_PAD src0_sel:WORD_1 src1_sel:WORD_1
	v_sub_f16_e32 v32, v11, v44
	v_pk_add_f16 v11, v20, v9
	v_sub_f16_sdwa v20, v44, v9 dst_sel:DWORD dst_unused:UNUSED_PAD src0_sel:WORD_1 src1_sel:WORD_1
	v_sub_f16_sdwa v9, v9, v44 dst_sel:DWORD dst_unused:UNUSED_PAD src0_sel:WORD_1 src1_sel:WORD_1
	v_fma_f16 v29, v29, -0.5, v5
	v_fma_f16 v5, v33, -0.5, v5
	v_add_f16_e32 v20, v31, v20
	v_fma_f16 v31, v32, s4, v29
	v_add_f16_e32 v7, v7, v9
	v_fma_f16 v9, v30, s1, v5
	v_fma_f16 v5, v30, s4, v5
	;; [unrolled: 1-line block ×10, first 2 shown]
	v_mul_f16_e32 v7, 0x3a79, v27
	v_fma_f16 v29, v20, s3, v29
	v_fma_f16 v20, v31, s0, v7
	v_mul_f16_e32 v7, 0xb8b4, v27
	v_mul_f16_e32 v27, 0xbb9c, v28
	v_fma_f16 v31, v31, s5, v7
	v_mul_f16_e32 v7, 0x3b9c, v9
	v_fma_f16 v9, v9, s3, v27
	v_mul_f16_e32 v27, 0x34f2, v6
	v_fma_f16 v32, v5, s1, -v27
	v_mul_f16_e32 v5, 0x34f2, v5
	v_fma_f16 v33, v6, s4, -v5
	;; [unrolled: 2-line block ×3, first 2 shown]
	v_mul_f16_e32 v5, 0x3a79, v29
	v_pk_add_f16 v11, v11, v44
	v_fma_f16 v7, v28, s3, v7
	v_fma_f16 v35, v1, s2, -v5
	s_movk_i32 s0, 0x48
	v_add_f16_e32 v1, v10, v9
	v_sub_f16_e32 v27, v10, v9
	v_add_f16_e32 v5, v8, v7
	v_add_f16_e32 v6, v16, v32
	v_sub_f16_e32 v10, v8, v7
	v_sub_f16_e32 v9, v14, v20
	v_add_f16_e32 v7, v15, v34
	v_pk_add_f16 v8, v12, v11 neg_lo:[0,1] neg_hi:[0,1]
	v_cmp_gt_u32_e64 s[0:1], s0, v0
	v_add_f16_e32 v28, v19, v33
	v_add_f16_e32 v29, v18, v35
	v_sub_f16_e32 v30, v17, v31
	s_and_saveexec_b64 s[2:3], s[0:1]
	s_cbranch_execz .LBB0_15
; %bb.14:
	v_add_f16_e32 v14, v14, v20
	v_mul_i32_i24_e32 v20, 10, v4
	v_add_f16_e32 v17, v17, v31
	v_lshlrev_b32_e32 v20, 2, v20
	v_add3_u32 v20, 0, v20, v24
	v_pk_add_f16 v11, v12, v11
	v_pack_b32_f16 v12, v14, v17
	s_mov_b32 s0, 0x5040100
	ds_write2_b32 v20, v11, v12 offset1:1
	v_perm_b32 v11, v28, v6, s0
	v_perm_b32 v12, v1, v5, s0
	ds_write2_b32 v20, v12, v11 offset0:2 offset1:3
	v_perm_b32 v11, v29, v7, s0
	v_sub_f16_e32 v18, v18, v35
	v_sub_f16_e32 v19, v19, v33
	v_sub_f16_e32 v15, v15, v34
	v_sub_f16_e32 v16, v16, v32
	ds_write2_b32 v20, v11, v8 offset0:4 offset1:5
	v_perm_b32 v11, v27, v10, s0
	v_perm_b32 v12, v30, v9, s0
	ds_write2_b32 v20, v12, v11 offset0:6 offset1:7
	v_pack_b32_f16 v11, v15, v18
	v_pack_b32_f16 v12, v16, v19
	ds_write2_b32 v20, v12, v11 offset0:8 offset1:9
.LBB0_15:
	s_or_b64 exec, exec, s[2:3]
	v_add_u32_e32 v11, 0x800, v23
	s_waitcnt lgkmcnt(0)
	s_barrier
	ds_read2_b32 v[15:16], v11 offset0:128 offset1:248
	v_add_u32_e32 v11, 0xe00, v23
	ds_read2_b32 v[17:18], v11 offset0:64 offset1:184
	v_add_u32_e32 v11, 0x1400, v23
	ds_read2_b32 v[13:14], v13 offset0:64 offset1:184
	ds_read2_b32 v[19:20], v11 offset1:120
	ds_read2_b32 v[11:12], v26 offset0:64 offset1:184
	v_lshlrev_b32_e32 v26, 2, v4
	v_add3_u32 v26, 0, v26, v24
	ds_read_b32 v32, v21
	ds_read_b32 v31, v26
	s_movk_i32 s0, 0x50
	v_cmp_gt_u32_e64 s[0:1], s0, v0
	s_and_saveexec_b64 s[2:3], s[0:1]
	s_cbranch_execz .LBB0_17
; %bb.16:
	v_add_u32_e32 v1, 0xc0, v23
	ds_read2st64_b32 v[5:6], v1 offset0:3 offset1:8
	ds_read2st64_b32 v[7:8], v1 offset0:13 offset1:18
	;; [unrolled: 1-line block ×3, first 2 shown]
	s_waitcnt lgkmcnt(2)
	v_lshrrev_b32_e32 v1, 16, v5
	v_lshrrev_b32_e32 v28, 16, v6
	s_waitcnt lgkmcnt(1)
	v_lshrrev_b32_e32 v29, 16, v7
	s_waitcnt lgkmcnt(0)
	v_lshrrev_b32_e32 v30, 16, v9
	v_lshrrev_b32_e32 v27, 16, v10
.LBB0_17:
	s_or_b64 exec, exec, s[2:3]
	s_movk_i32 s3, 0xcd
	v_mul_lo_u16_sdwa v33, v0, s3 dst_sel:DWORD dst_unused:UNUSED_PAD src0_sel:BYTE_0 src1_sel:DWORD
	v_lshrrev_b16_e32 v49, 11, v33
	v_mul_lo_u16_e32 v33, 10, v49
	v_sub_u16_e32 v50, v0, v33
	v_mov_b32_e32 v51, 5
	v_mul_u32_u24_sdwa v33, v50, v51 dst_sel:DWORD dst_unused:UNUSED_PAD src0_sel:BYTE_0 src1_sel:DWORD
	v_lshlrev_b32_e32 v52, 2, v33
	global_load_dwordx4 v[33:36], v52, s[8:9]
	s_waitcnt lgkmcnt(4)
	v_lshrrev_b32_e32 v41, 16, v13
	v_lshrrev_b32_e32 v42, 16, v15
	v_lshrrev_b32_e32 v43, 16, v17
	s_waitcnt lgkmcnt(3)
	v_lshrrev_b32_e32 v44, 16, v19
	s_waitcnt lgkmcnt(2)
	v_lshrrev_b32_e32 v45, 16, v11
	v_lshrrev_b32_e32 v46, 16, v14
	;; [unrolled: 1-line block ×6, first 2 shown]
	s_waitcnt lgkmcnt(1)
	v_lshrrev_b32_e32 v37, 16, v32
	s_movk_i32 s5, 0x3aee
	s_mov_b32 s6, 0xbaee
	s_waitcnt lgkmcnt(0)
	v_lshrrev_b32_e32 v38, 16, v31
	s_movk_i32 s2, 0xf0
	s_mov_b32 s4, 0xffff
	s_waitcnt vmcnt(0)
	v_mul_f16_sdwa v53, v33, v41 dst_sel:DWORD dst_unused:UNUSED_PAD src0_sel:WORD_1 src1_sel:DWORD
	v_fma_f16 v53, v33, v13, -v53
	v_mul_f16_sdwa v13, v33, v13 dst_sel:DWORD dst_unused:UNUSED_PAD src0_sel:WORD_1 src1_sel:DWORD
	v_fma_f16 v13, v33, v41, v13
	v_mul_f16_sdwa v33, v34, v42 dst_sel:DWORD dst_unused:UNUSED_PAD src0_sel:WORD_1 src1_sel:DWORD
	v_fma_f16 v41, v34, v15, -v33
	v_mul_f16_sdwa v15, v34, v15 dst_sel:DWORD dst_unused:UNUSED_PAD src0_sel:WORD_1 src1_sel:DWORD
	v_mul_f16_sdwa v33, v35, v43 dst_sel:DWORD dst_unused:UNUSED_PAD src0_sel:WORD_1 src1_sel:DWORD
	v_fma_f16 v15, v34, v42, v15
	v_fma_f16 v42, v35, v17, -v33
	v_mul_f16_sdwa v17, v35, v17 dst_sel:DWORD dst_unused:UNUSED_PAD src0_sel:WORD_1 src1_sel:DWORD
	v_mul_f16_sdwa v33, v36, v44 dst_sel:DWORD dst_unused:UNUSED_PAD src0_sel:WORD_1 src1_sel:DWORD
	v_fma_f16 v17, v35, v43, v17
	v_fma_f16 v43, v36, v19, -v33
	global_load_dword v33, v52, s[8:9] offset:16
	v_mul_f16_sdwa v19, v36, v19 dst_sel:DWORD dst_unused:UNUSED_PAD src0_sel:WORD_1 src1_sel:DWORD
	v_fma_f16 v19, v36, v44, v19
	s_waitcnt vmcnt(0)
	v_mul_f16_sdwa v34, v33, v45 dst_sel:DWORD dst_unused:UNUSED_PAD src0_sel:WORD_1 src1_sel:DWORD
	v_fma_f16 v44, v33, v11, -v34
	v_mul_f16_sdwa v11, v33, v11 dst_sel:DWORD dst_unused:UNUSED_PAD src0_sel:WORD_1 src1_sel:DWORD
	v_fma_f16 v11, v33, v45, v11
	v_mul_lo_u16_sdwa v33, v4, s3 dst_sel:DWORD dst_unused:UNUSED_PAD src0_sel:BYTE_0 src1_sel:DWORD
	v_lshrrev_b16_e32 v45, 11, v33
	v_mul_lo_u16_e32 v33, 10, v45
	v_sub_u16_e32 v52, v4, v33
	v_mul_u32_u24_sdwa v33, v52, v51 dst_sel:DWORD dst_unused:UNUSED_PAD src0_sel:BYTE_0 src1_sel:DWORD
	v_lshlrev_b32_e32 v51, 2, v33
	global_load_dwordx4 v[33:36], v51, s[8:9]
	s_waitcnt vmcnt(0)
	v_mul_f16_sdwa v54, v33, v46 dst_sel:DWORD dst_unused:UNUSED_PAD src0_sel:WORD_1 src1_sel:DWORD
	v_fma_f16 v54, v33, v14, -v54
	v_mul_f16_sdwa v14, v33, v14 dst_sel:DWORD dst_unused:UNUSED_PAD src0_sel:WORD_1 src1_sel:DWORD
	v_fma_f16 v14, v33, v46, v14
	v_mul_f16_sdwa v33, v34, v47 dst_sel:DWORD dst_unused:UNUSED_PAD src0_sel:WORD_1 src1_sel:DWORD
	v_fma_f16 v33, v34, v16, -v33
	v_mul_f16_sdwa v16, v34, v16 dst_sel:DWORD dst_unused:UNUSED_PAD src0_sel:WORD_1 src1_sel:DWORD
	v_fma_f16 v16, v34, v47, v16
	;; [unrolled: 4-line block ×3, first 2 shown]
	v_mul_f16_sdwa v35, v39, v36 dst_sel:DWORD dst_unused:UNUSED_PAD src0_sel:DWORD src1_sel:WORD_1
	v_fma_f16 v35, v20, v36, -v35
	v_mul_f16_sdwa v20, v20, v36 dst_sel:DWORD dst_unused:UNUSED_PAD src0_sel:DWORD src1_sel:WORD_1
	v_fma_f16 v20, v39, v36, v20
	global_load_dword v36, v51, s[8:9] offset:16
	s_waitcnt vmcnt(0)
	s_barrier
	v_mul_f16_sdwa v39, v40, v36 dst_sel:DWORD dst_unused:UNUSED_PAD src0_sel:DWORD src1_sel:WORD_1
	v_fma_f16 v39, v12, v36, -v39
	v_mul_f16_sdwa v12, v12, v36 dst_sel:DWORD dst_unused:UNUSED_PAD src0_sel:DWORD src1_sel:WORD_1
	v_fma_f16 v12, v40, v36, v12
	v_add_f16_e32 v40, v41, v43
	v_add_f16_e32 v36, v32, v41
	v_fma_f16 v32, v40, -0.5, v32
	v_sub_f16_e32 v40, v15, v19
	v_fma_f16 v46, v40, s5, v32
	v_fma_f16 v32, v40, s6, v32
	v_add_f16_e32 v40, v37, v15
	v_add_f16_e32 v40, v40, v19
	;; [unrolled: 1-line block ×3, first 2 shown]
	v_sub_f16_e32 v19, v41, v43
	v_add_f16_e32 v41, v42, v44
	v_add_f16_e32 v36, v36, v43
	v_fma_f16 v41, v41, -0.5, v53
	v_sub_f16_e32 v43, v17, v11
	v_fma_f16 v47, v43, s5, v41
	v_fma_f16 v41, v43, s6, v41
	v_add_f16_e32 v43, v13, v17
	v_add_f16_e32 v43, v43, v11
	;; [unrolled: 1-line block ×3, first 2 shown]
	v_fma_f16 v11, v11, -0.5, v13
	v_sub_f16_e32 v13, v42, v44
	v_fma_f16 v15, v15, -0.5, v37
	v_fma_f16 v17, v13, s6, v11
	v_fma_f16 v37, v19, s6, v15
	v_fma_f16 v15, v19, s5, v15
	v_add_f16_e32 v19, v53, v42
	v_mul_f16_e32 v42, 0x3aee, v17
	v_fma_f16 v11, v13, s5, v11
	v_fma_f16 v42, v47, 0.5, v42
	v_mul_f16_e32 v48, -0.5, v41
	v_mul_f16_e32 v47, 0xbaee, v47
	v_fma_f16 v48, v11, s5, v48
	v_fma_f16 v17, v17, 0.5, v47
	v_mul_f16_e32 v11, -0.5, v11
	v_add_f16_e32 v47, v37, v17
	v_fma_f16 v11, v41, s6, v11
	v_sub_f16_e32 v17, v37, v17
	v_add_f16_e32 v37, v33, v35
	v_add_f16_e32 v19, v19, v44
	;; [unrolled: 1-line block ×3, first 2 shown]
	v_sub_f16_e32 v11, v15, v11
	v_add_f16_e32 v15, v31, v33
	v_fma_f16 v31, v37, -0.5, v31
	v_sub_f16_e32 v37, v16, v20
	v_add_f16_e32 v13, v36, v19
	v_add_f16_e32 v44, v46, v42
	v_sub_f16_e32 v19, v36, v19
	v_sub_f16_e32 v36, v46, v42
	v_fma_f16 v42, v37, s5, v31
	v_fma_f16 v31, v37, s6, v31
	v_add_f16_e32 v37, v38, v16
	v_add_f16_e32 v15, v15, v35
	;; [unrolled: 1-line block ×4, first 2 shown]
	v_sub_f16_e32 v20, v33, v35
	v_add_f16_e32 v35, v34, v39
	v_fma_f16 v16, v16, -0.5, v38
	v_fma_f16 v35, v35, -0.5, v54
	v_sub_f16_e32 v38, v18, v12
	v_add_f16_e32 v53, v40, v43
	v_sub_f16_e32 v40, v40, v43
	v_fma_f16 v43, v38, s5, v35
	v_fma_f16 v35, v38, s6, v35
	v_add_f16_e32 v38, v14, v18
	v_add_f16_e32 v38, v38, v12
	;; [unrolled: 1-line block ×3, first 2 shown]
	v_fma_f16 v12, v12, -0.5, v14
	v_sub_f16_e32 v14, v34, v39
	v_fma_f16 v18, v14, s6, v12
	v_fma_f16 v33, v20, s6, v16
	;; [unrolled: 1-line block ×3, first 2 shown]
	v_add_f16_e32 v20, v54, v34
	v_mul_f16_e32 v34, 0x3aee, v18
	v_fma_f16 v12, v14, s5, v12
	v_fma_f16 v34, v43, 0.5, v34
	v_mul_f16_e32 v46, -0.5, v35
	v_mul_f16_e32 v43, 0xbaee, v43
	v_fma_f16 v46, v12, s5, v46
	v_fma_f16 v18, v18, 0.5, v43
	v_mul_f16_e32 v12, -0.5, v12
	v_add_f16_e32 v20, v20, v39
	v_add_f16_e32 v43, v33, v18
	v_fma_f16 v12, v35, s6, v12
	v_sub_f16_e32 v18, v33, v18
	v_mov_b32_e32 v33, 2
	v_add_f16_e32 v14, v15, v20
	v_add_f16_e32 v39, v42, v34
	v_add_f16_e32 v54, v37, v38
	v_add_f16_e32 v35, v16, v12
	v_sub_f16_e32 v15, v15, v20
	v_sub_f16_e32 v20, v42, v34
	;; [unrolled: 1-line block ×4, first 2 shown]
	v_mad_u32_u24 v16, v49, s2, 0
	v_lshlrev_b32_sdwa v37, v33, v50 dst_sel:DWORD dst_unused:UNUSED_PAD src0_sel:DWORD src1_sel:BYTE_0
	v_add_f16_e32 v51, v32, v48
	v_add3_u32 v16, v16, v37, v24
	v_pack_b32_f16 v13, v13, v53
	v_pack_b32_f16 v37, v44, v47
	v_sub_f16_e32 v32, v32, v48
	ds_write2_b32 v16, v13, v37 offset1:10
	v_pack_b32_f16 v13, v51, v41
	v_pack_b32_f16 v19, v19, v40
	ds_write2_b32 v16, v13, v19 offset0:20 offset1:30
	v_pack_b32_f16 v13, v36, v17
	v_pack_b32_f16 v11, v32, v11
	ds_write2_b32 v16, v13, v11 offset0:40 offset1:50
	v_mad_u32_u24 v11, v45, s2, 0
	v_lshlrev_b32_sdwa v13, v33, v52 dst_sel:DWORD dst_unused:UNUSED_PAD src0_sel:DWORD src1_sel:BYTE_0
	v_add_f16_e32 v48, v31, v46
	v_add3_u32 v11, v11, v13, v24
	v_pack_b32_f16 v13, v14, v54
	v_pack_b32_f16 v14, v39, v43
	v_sub_f16_e32 v31, v31, v46
	ds_write2_b32 v11, v13, v14 offset1:10
	v_pack_b32_f16 v13, v48, v35
	v_pack_b32_f16 v14, v15, v34
	ds_write2_b32 v11, v13, v14 offset0:20 offset1:30
	v_pack_b32_f16 v13, v20, v18
	v_pack_b32_f16 v12, v31, v12
	ds_write2_b32 v11, v13, v12 offset0:40 offset1:50
	s_and_saveexec_b64 s[2:3], s[0:1]
	s_cbranch_execz .LBB0_19
; %bb.18:
	v_add_u32_e32 v11, 0xf0, v0
	s_mov_b32 s0, 0xcccd
	v_mul_u32_u24_sdwa v12, v11, s0 dst_sel:DWORD dst_unused:UNUSED_PAD src0_sel:WORD_0 src1_sel:DWORD
	v_lshrrev_b32_e32 v15, 19, v12
	v_mul_lo_u16_e32 v12, 10, v15
	v_sub_u16_e32 v16, v11, v12
	v_mul_u32_u24_e32 v11, 5, v16
	v_lshlrev_b32_e32 v17, 2, v11
	global_load_dwordx4 v[11:14], v17, s[8:9]
	global_load_dword v18, v17, s[8:9] offset:16
	v_mul_lo_u16_e32 v15, 60, v15
	v_lshrrev_b32_e32 v17, 16, v8
	v_lshlrev_b32_e32 v15, 2, v15
	v_lshl_add_u32 v16, v16, 2, 0
	v_add3_u32 v15, v16, v15, v24
	s_waitcnt vmcnt(1)
	v_mul_f16_sdwa v16, v29, v12 dst_sel:DWORD dst_unused:UNUSED_PAD src0_sel:DWORD src1_sel:WORD_1
	v_mul_f16_sdwa v33, v17, v13 dst_sel:DWORD dst_unused:UNUSED_PAD src0_sel:DWORD src1_sel:WORD_1
	s_waitcnt vmcnt(0)
	v_mul_f16_sdwa v34, v27, v18 dst_sel:DWORD dst_unused:UNUSED_PAD src0_sel:DWORD src1_sel:WORD_1
	v_mul_f16_sdwa v35, v8, v13 dst_sel:DWORD dst_unused:UNUSED_PAD src0_sel:DWORD src1_sel:WORD_1
	;; [unrolled: 1-line block ×8, first 2 shown]
	v_fma_f16 v7, v7, v12, -v16
	v_fma_f16 v8, v8, v13, -v33
	;; [unrolled: 1-line block ×3, first 2 shown]
	v_fma_f16 v13, v17, v13, v35
	v_fma_f16 v16, v27, v18, v36
	v_fma_f16 v9, v9, v14, -v19
	v_fma_f16 v12, v29, v12, v20
	v_fma_f16 v14, v30, v14, v31
	v_fma_f16 v6, v6, v11, -v32
	v_fma_f16 v11, v28, v11, v37
	v_add_f16_e32 v19, v8, v10
	v_add_f16_e32 v28, v13, v16
	v_sub_f16_e32 v17, v7, v9
	v_add_f16_e32 v18, v12, v14
	v_sub_f16_e32 v20, v13, v16
	v_sub_f16_e32 v27, v8, v10
	v_add_f16_e32 v29, v1, v12
	v_add_f16_e32 v13, v11, v13
	;; [unrolled: 1-line block ×5, first 2 shown]
	v_fma_f16 v6, v19, -0.5, v6
	v_fma_f16 v11, v28, -0.5, v11
	v_sub_f16_e32 v12, v12, v14
	v_fma_f16 v1, v18, -0.5, v1
	v_add_f16_e32 v14, v29, v14
	v_add_f16_e32 v13, v13, v16
	v_fma_f16 v5, v30, -0.5, v5
	v_add_f16_e32 v7, v7, v9
	v_add_f16_e32 v8, v8, v10
	v_fma_f16 v10, v20, s6, v6
	v_fma_f16 v16, v27, s5, v11
	;; [unrolled: 1-line block ×6, first 2 shown]
	v_sub_f16_e32 v17, v14, v13
	v_fma_f16 v18, v12, s6, v5
	v_fma_f16 v5, v12, s5, v5
	v_sub_f16_e32 v12, v7, v8
	v_add_f16_e32 v13, v14, v13
	v_add_f16_e32 v7, v7, v8
	v_mul_f16_e32 v8, -0.5, v16
	v_mul_f16_e32 v14, 0xbaee, v6
	v_mul_f16_e32 v20, 0x3aee, v11
	v_mul_f16_e32 v19, -0.5, v10
	v_fma_f16 v8, v10, s6, v8
	v_fma_f16 v10, v11, 0.5, v14
	v_fma_f16 v6, v6, 0.5, v20
	v_pack_b32_f16 v12, v12, v17
	v_fma_f16 v11, v16, s5, v19
	v_sub_f16_e32 v14, v1, v10
	v_sub_f16_e32 v17, v5, v6
	v_add_f16_e32 v1, v1, v10
	v_add_f16_e32 v5, v5, v6
	v_pack_b32_f16 v7, v7, v13
	v_sub_f16_e32 v13, v9, v8
	v_sub_f16_e32 v16, v18, v11
	v_add_f16_e32 v8, v9, v8
	v_add_f16_e32 v9, v18, v11
	v_pack_b32_f16 v1, v5, v1
	v_pack_b32_f16 v5, v9, v8
	;; [unrolled: 1-line block ×4, first 2 shown]
	ds_write2_b32 v15, v7, v1 offset1:10
	ds_write2_b32 v15, v5, v12 offset0:20 offset1:30
	ds_write2_b32 v15, v6, v8 offset0:40 offset1:50
.LBB0_19:
	s_or_b64 exec, exec, s[2:3]
	v_subrev_u32_e32 v1, 60, v0
	v_cmp_gt_u32_e64 s[0:1], 60, v0
	v_cndmask_b32_e64 v1, v1, v0, s[0:1]
	v_mul_i32_i24_e32 v19, 15, v1
	v_mov_b32_e32 v20, 0
	v_lshlrev_b64 v[5:6], 2, v[19:20]
	v_mov_b32_e32 v41, s9
	v_add_co_u32_e64 v27, s[0:1], s8, v5
	v_addc_co_u32_e64 v28, s[0:1], v41, v6, s[0:1]
	s_waitcnt lgkmcnt(0)
	s_barrier
	global_load_dwordx4 v[5:8], v[27:28], off offset:200
	global_load_dwordx4 v[9:12], v[27:28], off offset:216
	;; [unrolled: 1-line block ×3, first 2 shown]
	global_load_dwordx3 v[17:19], v[27:28], off offset:248
	ds_read_b32 v42, v21
	ds_read_b32 v43, v26
	v_add_u32_e32 v44, 0x200, v23
	v_add_u32_e32 v45, 0x600, v23
	;; [unrolled: 1-line block ×7, first 2 shown]
	ds_read2_b32 v[27:28], v44 offset0:112 offset1:232
	ds_read2_b32 v[29:30], v45 offset0:96 offset1:216
	;; [unrolled: 1-line block ×7, first 2 shown]
	s_waitcnt lgkmcnt(6)
	v_lshrrev_b32_e32 v54, 16, v27
	v_lshrrev_b32_e32 v55, 16, v28
	;; [unrolled: 1-line block ×3, first 2 shown]
	s_waitcnt lgkmcnt(5)
	v_lshrrev_b32_e32 v52, 16, v29
	v_lshrrev_b32_e32 v53, 16, v30
	s_mov_b32 s0, 0xb9a8
	s_movk_i32 s1, 0x39a8
	s_mov_b32 s2, 0xbb64
	s_mov_b32 s3, 0xb61f
	s_movk_i32 s5, 0x361f
	s_movk_i32 s6, 0x3b64
	s_waitcnt vmcnt(0) lgkmcnt(0)
	s_barrier
	v_mul_f16_sdwa v56, v6, v54 dst_sel:DWORD dst_unused:UNUSED_PAD src0_sel:WORD_1 src1_sel:DWORD
	v_mul_f16_sdwa v58, v7, v55 dst_sel:DWORD dst_unused:UNUSED_PAD src0_sel:WORD_1 src1_sel:DWORD
	;; [unrolled: 1-line block ×3, first 2 shown]
	v_fma_f16 v27, v6, v27, -v56
	v_fma_f16 v56, v7, v28, -v58
	v_mul_f16_sdwa v28, v7, v28 dst_sel:DWORD dst_unused:UNUSED_PAD src0_sel:WORD_1 src1_sel:DWORD
	v_mul_f16_sdwa v58, v5, v51 dst_sel:DWORD dst_unused:UNUSED_PAD src0_sel:WORD_1 src1_sel:DWORD
	v_fma_f16 v58, v5, v43, -v58
	v_mul_f16_sdwa v43, v5, v43 dst_sel:DWORD dst_unused:UNUSED_PAD src0_sel:WORD_1 src1_sel:DWORD
	v_fma_f16 v7, v7, v55, v28
	v_mul_f16_sdwa v28, v29, v8 dst_sel:DWORD dst_unused:UNUSED_PAD src0_sel:DWORD src1_sel:WORD_1
	v_fma_f16 v5, v5, v51, v43
	v_lshrrev_b32_e32 v43, 16, v31
	v_lshrrev_b32_e32 v51, 16, v32
	v_fma_f16 v28, v52, v8, v28
	v_mul_f16_sdwa v52, v52, v8 dst_sel:DWORD dst_unused:UNUSED_PAD src0_sel:DWORD src1_sel:WORD_1
	v_fma_f16 v6, v6, v54, v57
	v_fma_f16 v8, v29, v8, -v52
	v_mul_f16_sdwa v52, v53, v9 dst_sel:DWORD dst_unused:UNUSED_PAD src0_sel:DWORD src1_sel:WORD_1
	v_mul_f16_sdwa v55, v43, v10 dst_sel:DWORD dst_unused:UNUSED_PAD src0_sel:DWORD src1_sel:WORD_1
	;; [unrolled: 1-line block ×4, first 2 shown]
	v_fma_f16 v30, v30, v9, -v52
	v_mul_f16_sdwa v52, v31, v10 dst_sel:DWORD dst_unused:UNUSED_PAD src0_sel:DWORD src1_sel:WORD_1
	v_fma_f16 v31, v31, v10, -v55
	v_fma_f16 v55, v32, v11, -v57
	v_lshrrev_b32_e32 v57, 16, v34
	v_fma_f16 v10, v43, v10, v52
	v_mul_f16_sdwa v52, v57, v13 dst_sel:DWORD dst_unused:UNUSED_PAD src0_sel:DWORD src1_sel:WORD_1
	v_fma_f16 v9, v53, v9, v54
	v_lshrrev_b32_e32 v53, 16, v35
	v_fma_f16 v52, v34, v13, -v52
	v_mul_f16_sdwa v34, v34, v13 dst_sel:DWORD dst_unused:UNUSED_PAD src0_sel:DWORD src1_sel:WORD_1
	v_mul_f16_sdwa v32, v32, v11 dst_sel:DWORD dst_unused:UNUSED_PAD src0_sel:DWORD src1_sel:WORD_1
	v_lshrrev_b32_e32 v43, 16, v36
	v_mul_f16_sdwa v54, v53, v14 dst_sel:DWORD dst_unused:UNUSED_PAD src0_sel:DWORD src1_sel:WORD_1
	v_fma_f16 v13, v57, v13, v34
	v_mul_f16_sdwa v34, v35, v14 dst_sel:DWORD dst_unused:UNUSED_PAD src0_sel:DWORD src1_sel:WORD_1
	v_lshrrev_b32_e32 v29, 16, v33
	v_fma_f16 v11, v51, v11, v32
	v_mul_f16_sdwa v32, v33, v12 dst_sel:DWORD dst_unused:UNUSED_PAD src0_sel:DWORD src1_sel:WORD_1
	v_fma_f16 v35, v35, v14, -v54
	v_fma_f16 v14, v53, v14, v34
	v_mul_f16_sdwa v34, v43, v15 dst_sel:DWORD dst_unused:UNUSED_PAD src0_sel:DWORD src1_sel:WORD_1
	v_fma_f16 v32, v29, v12, v32
	v_mul_f16_sdwa v29, v29, v12 dst_sel:DWORD dst_unused:UNUSED_PAD src0_sel:DWORD src1_sel:WORD_1
	v_fma_f16 v34, v36, v15, -v34
	v_mul_f16_sdwa v36, v36, v15 dst_sel:DWORD dst_unused:UNUSED_PAD src0_sel:DWORD src1_sel:WORD_1
	v_fma_f16 v12, v33, v12, -v29
	v_lshrrev_b32_e32 v29, 16, v37
	v_fma_f16 v15, v43, v15, v36
	v_mul_f16_sdwa v36, v37, v16 dst_sel:DWORD dst_unused:UNUSED_PAD src0_sel:DWORD src1_sel:WORD_1
	v_lshrrev_b32_e32 v33, 16, v38
	v_fma_f16 v36, v29, v16, v36
	v_mul_f16_sdwa v29, v29, v16 dst_sel:DWORD dst_unused:UNUSED_PAD src0_sel:DWORD src1_sel:WORD_1
	v_lshrrev_b32_e32 v51, 16, v39
	v_fma_f16 v16, v37, v16, -v29
	v_mul_f16_sdwa v29, v33, v17 dst_sel:DWORD dst_unused:UNUSED_PAD src0_sel:DWORD src1_sel:WORD_1
	v_mul_f16_sdwa v37, v38, v17 dst_sel:DWORD dst_unused:UNUSED_PAD src0_sel:DWORD src1_sel:WORD_1
	v_lshrrev_b32_e32 v53, 16, v40
	v_fma_f16 v29, v38, v17, -v29
	v_fma_f16 v17, v33, v17, v37
	v_mul_f16_sdwa v33, v51, v18 dst_sel:DWORD dst_unused:UNUSED_PAD src0_sel:DWORD src1_sel:WORD_1
	v_mul_f16_sdwa v37, v39, v18 dst_sel:DWORD dst_unused:UNUSED_PAD src0_sel:DWORD src1_sel:WORD_1
	v_fma_f16 v33, v39, v18, -v33
	v_fma_f16 v18, v51, v18, v37
	v_mul_f16_sdwa v37, v53, v19 dst_sel:DWORD dst_unused:UNUSED_PAD src0_sel:DWORD src1_sel:WORD_1
	v_mul_f16_sdwa v38, v40, v19 dst_sel:DWORD dst_unused:UNUSED_PAD src0_sel:DWORD src1_sel:WORD_1
	v_fma_f16 v37, v40, v19, -v37
	v_fma_f16 v19, v53, v19, v38
	v_lshrrev_b32_e32 v38, 16, v42
	v_sub_f16_e32 v12, v42, v12
	v_sub_f16_e32 v36, v28, v36
	v_sub_f16_e32 v35, v27, v35
	v_sub_f16_e32 v18, v10, v18
	v_sub_f16_e32 v32, v38, v32
	v_sub_f16_e32 v16, v8, v16
	v_fma_f16 v28, v28, 2.0, -v36
	v_sub_f16_e32 v14, v6, v14
	v_sub_f16_e32 v33, v31, v33
	v_fma_f16 v10, v10, 2.0, -v18
	v_sub_f16_e32 v36, v12, v36
	v_sub_f16_e32 v18, v35, v18
	v_fma_f16 v39, v42, 2.0, -v12
	v_fma_f16 v8, v8, 2.0, -v16
	;; [unrolled: 1-line block ×4, first 2 shown]
	v_sub_f16_e32 v40, v58, v52
	v_sub_f16_e32 v17, v9, v17
	;; [unrolled: 1-line block ×4, first 2 shown]
	v_add_f16_e32 v16, v32, v16
	v_fma_f16 v12, v12, 2.0, -v36
	v_add_f16_e32 v33, v14, v33
	v_fma_f16 v35, v35, 2.0, -v18
	v_fma_f16 v38, v38, 2.0, -v32
	v_fma_f16 v6, v6, 2.0, -v14
	v_sub_f16_e32 v13, v5, v13
	v_sub_f16_e32 v29, v30, v29
	v_fma_f16 v9, v9, 2.0, -v17
	v_sub_f16_e32 v15, v7, v15
	v_sub_f16_e32 v37, v55, v37
	v_fma_f16 v11, v11, 2.0, -v19
	v_fma_f16 v32, v32, 2.0, -v16
	;; [unrolled: 1-line block ×3, first 2 shown]
	v_sub_f16_e32 v17, v40, v17
	v_sub_f16_e32 v19, v34, v19
	v_fma_f16 v52, v35, s0, v12
	v_fma_f16 v42, v58, 2.0, -v40
	v_fma_f16 v30, v30, 2.0, -v29
	;; [unrolled: 1-line block ×4, first 2 shown]
	v_add_f16_e32 v29, v13, v29
	v_fma_f16 v40, v40, 2.0, -v17
	v_add_f16_e32 v37, v15, v37
	v_fma_f16 v34, v34, 2.0, -v19
	v_fma_f16 v53, v14, s0, v32
	v_fma_f16 v14, v14, s0, v52
	;; [unrolled: 1-line block ×3, first 2 shown]
	v_fma_f16 v5, v5, 2.0, -v13
	v_fma_f16 v7, v7, 2.0, -v15
	v_fma_f16 v13, v13, 2.0, -v29
	v_fma_f16 v15, v15, 2.0, -v37
	v_fma_f16 v35, v35, s1, v53
	v_fma_f16 v53, v33, s1, v16
	;; [unrolled: 1-line block ×4, first 2 shown]
	v_sub_f16_e32 v8, v39, v8
	v_sub_f16_e32 v10, v6, v10
	;; [unrolled: 1-line block ×4, first 2 shown]
	v_fma_f16 v18, v18, s1, v53
	v_fma_f16 v53, v15, s0, v13
	v_fma_f16 v15, v15, s0, v52
	v_sub_f16_e32 v28, v38, v28
	v_sub_f16_e32 v31, v27, v31
	v_fma_f16 v6, v6, 2.0, -v10
	v_sub_f16_e32 v9, v5, v9
	v_sub_f16_e32 v51, v43, v51
	v_fma_f16 v7, v7, 2.0, -v11
	v_fma_f16 v12, v12, 2.0, -v14
	v_sub_f16_e32 v10, v8, v10
	v_fma_f16 v34, v34, s1, v53
	v_fma_f16 v40, v40, 2.0, -v15
	v_sub_f16_e32 v11, v30, v11
	v_fma_f16 v52, v19, s1, v17
	v_fma_f16 v39, v39, 2.0, -v8
	v_fma_f16 v27, v27, 2.0, -v31
	;; [unrolled: 1-line block ×5, first 2 shown]
	v_add_f16_e32 v31, v28, v31
	v_fma_f16 v8, v8, 2.0, -v10
	v_fma_f16 v13, v13, 2.0, -v34
	v_add_f16_e32 v51, v9, v51
	v_fma_f16 v30, v30, 2.0, -v11
	v_fma_f16 v53, v37, s1, v29
	v_fma_f16 v37, v37, s0, v52
	;; [unrolled: 1-line block ×3, first 2 shown]
	v_fma_f16 v38, v38, 2.0, -v28
	v_fma_f16 v5, v5, 2.0, -v9
	;; [unrolled: 1-line block ×5, first 2 shown]
	v_fma_f16 v19, v19, s1, v53
	v_fma_f16 v17, v17, 2.0, -v37
	v_fma_f16 v53, v13, s2, v32
	v_fma_f16 v13, v13, s3, v52
	;; [unrolled: 1-line block ×3, first 2 shown]
	v_fma_f16 v16, v16, 2.0, -v18
	v_fma_f16 v29, v29, 2.0, -v19
	v_fma_f16 v40, v40, s5, v53
	v_fma_f16 v53, v9, s0, v28
	;; [unrolled: 1-line block ×16, first 2 shown]
	v_sub_f16_e32 v27, v39, v27
	v_sub_f16_e32 v6, v38, v6
	;; [unrolled: 1-line block ×4, first 2 shown]
	v_fma_f16 v11, v11, s1, v53
	v_fma_f16 v53, v19, s6, v18
	;; [unrolled: 1-line block ×3, first 2 shown]
	v_mov_b32_e32 v52, 0x3c0
	v_cmp_lt_u32_e64 s[0:1], 59, v0
	v_fma_f16 v39, v39, 2.0, -v27
	v_fma_f16 v38, v38, 2.0, -v6
	;; [unrolled: 1-line block ×4, first 2 shown]
	v_cndmask_b32_e64 v52, 0, v52, s[0:1]
	v_sub_f16_e32 v42, v39, v42
	v_sub_f16_e32 v5, v38, v5
	v_or_b32_e32 v1, v52, v1
	v_fma_f16 v39, v39, 2.0, -v42
	v_fma_f16 v38, v38, 2.0, -v5
	;; [unrolled: 1-line block ×4, first 2 shown]
	v_lshlrev_b32_e32 v1, 2, v1
	v_fma_f16 v8, v8, 2.0, -v9
	v_fma_f16 v28, v28, 2.0, -v30
	v_fma_f16 v36, v36, 2.0, -v29
	v_fma_f16 v16, v16, 2.0, -v17
	v_sub_f16_e32 v7, v27, v7
	v_add_f16_e32 v43, v6, v43
	v_add3_u32 v1, 0, v1, v24
	v_pack_b32_f16 v24, v39, v38
	v_pack_b32_f16 v12, v12, v32
	v_fma_f16 v27, v27, 2.0, -v7
	v_fma_f16 v6, v6, 2.0, -v43
	;; [unrolled: 1-line block ×4, first 2 shown]
	v_fma_f16 v37, v37, s5, v53
	ds_write2_b32 v1, v24, v12 offset1:60
	v_pack_b32_f16 v8, v8, v28
	v_pack_b32_f16 v12, v36, v16
	v_fma_f16 v10, v10, 2.0, -v51
	v_fma_f16 v31, v31, 2.0, -v11
	;; [unrolled: 1-line block ×4, first 2 shown]
	ds_write2_b32 v1, v8, v12 offset0:120 offset1:180
	v_pack_b32_f16 v6, v27, v6
	v_pack_b32_f16 v8, v14, v35
	v_add_u32_e32 v12, 0x200, v1
	ds_write2_b32 v12, v6, v8 offset0:112 offset1:172
	v_pack_b32_f16 v6, v10, v31
	v_pack_b32_f16 v8, v33, v18
	v_add_u32_e32 v10, 0x400, v1
	;; [unrolled: 4-line block ×6, first 2 shown]
	ds_write2_b32 v1, v5, v6 offset0:72 offset1:132
	v_mov_b32_e32 v1, v20
	v_lshlrev_b64 v[6:7], 2, v[0:1]
	s_waitcnt lgkmcnt(0)
	v_add_co_u32_e64 v8, s[0:1], s8, v6
	v_addc_co_u32_e64 v9, s[0:1], v41, v7, s[0:1]
	s_barrier
	global_load_dword v1, v[8:9], off offset:3800
	s_movk_i32 s0, 0x1000
	v_add_co_u32_e64 v8, s[0:1], s0, v8
	v_addc_co_u32_e64 v9, s[0:1], 0, v9, s[0:1]
	global_load_dword v24, v[8:9], off offset:664
	global_load_dword v29, v[8:9], off offset:1144
	;; [unrolled: 1-line block ×6, first 2 shown]
	v_mov_b32_e32 v5, v20
	v_lshlrev_b64 v[8:9], 2, v[4:5]
	v_add_co_u32_e64 v10, s[0:1], s8, v8
	v_addc_co_u32_e64 v11, s[0:1], v41, v9, s[0:1]
	global_load_dword v5, v[10:11], off offset:3800
	ds_read2_b32 v[10:11], v47 offset0:64 offset1:184
	ds_read_b32 v20, v21
	ds_read_b32 v34, v26
	ds_read2_b32 v[12:13], v44 offset0:112 offset1:232
	ds_read2_b32 v[14:15], v48 offset0:48 offset1:168
	;; [unrolled: 1-line block ×4, first 2 shown]
	v_cmp_ne_u32_e64 s[0:1], 0, v0
	s_waitcnt vmcnt(7) lgkmcnt(6)
	v_pk_mul_f16 v27, v1, v10 op_sel:[0,1]
	v_pk_fma_f16 v28, v1, v10, v27 op_sel:[0,0,1] op_sel_hi:[1,1,0] neg_lo:[0,0,1] neg_hi:[0,0,1]
	v_pk_fma_f16 v1, v1, v10, v27 op_sel:[0,0,1] op_sel_hi:[1,0,0]
	v_bfi_b32 v1, s4, v28, v1
	s_waitcnt lgkmcnt(5)
	v_pk_add_f16 v1, v20, v1 neg_lo:[0,1] neg_hi:[0,1]
	v_pk_fma_f16 v10, v20, 2.0, v1 op_sel_hi:[1,0,1] neg_lo:[0,0,1] neg_hi:[0,0,1]
	s_waitcnt vmcnt(6) lgkmcnt(2)
	v_pk_mul_f16 v20, v24, v14 op_sel:[0,1]
	v_pk_fma_f16 v27, v24, v14, v20 op_sel:[0,0,1] op_sel_hi:[1,1,0] neg_lo:[0,0,1] neg_hi:[0,0,1]
	v_pk_fma_f16 v14, v24, v14, v20 op_sel:[0,0,1] op_sel_hi:[1,0,0]
	v_bfi_b32 v14, s4, v27, v14
	ds_read2_b32 v[27:28], v49 offset0:32 offset1:152
	v_pk_add_f16 v14, v12, v14 neg_lo:[0,1] neg_hi:[0,1]
	v_pk_fma_f16 v20, v12, 2.0, v14 op_sel_hi:[1,0,1] neg_lo:[0,0,1] neg_hi:[0,0,1]
	s_waitcnt vmcnt(5)
	v_pk_mul_f16 v12, v29, v15 op_sel:[0,1]
	v_pk_fma_f16 v24, v29, v15, v12 op_sel:[0,0,1] op_sel_hi:[1,1,0] neg_lo:[0,0,1] neg_hi:[0,0,1]
	v_pk_fma_f16 v12, v29, v15, v12 op_sel:[0,0,1] op_sel_hi:[1,0,0]
	v_bfi_b32 v12, s4, v24, v12
	v_pk_add_f16 v15, v13, v12 neg_lo:[0,1] neg_hi:[0,1]
	s_waitcnt vmcnt(2) lgkmcnt(0)
	v_pk_mul_f16 v12, v27, v32 op_sel:[0,1]
	v_pk_fma_f16 v24, v13, 2.0, v15 op_sel_hi:[1,0,1] neg_lo:[0,0,1] neg_hi:[0,0,1]
	v_pk_fma_f16 v13, v27, v32, v12 op_sel:[0,0,1] op_sel_hi:[1,1,0] neg_lo:[0,0,1] neg_hi:[0,0,1]
	v_pk_fma_f16 v12, v27, v32, v12 op_sel:[0,0,1] op_sel_hi:[1,0,0]
	v_bfi_b32 v12, s4, v13, v12
	v_pk_add_f16 v27, v16, v12 neg_lo:[0,1] neg_hi:[0,1]
	ds_read2_b32 v[12:13], v50 offset0:16 offset1:136
	s_waitcnt vmcnt(1)
	v_pk_mul_f16 v29, v28, v33 op_sel:[0,1]
	v_pk_fma_f16 v32, v28, v33, v29 op_sel:[0,0,1] op_sel_hi:[1,1,0] neg_lo:[0,0,1] neg_hi:[0,0,1]
	v_pk_fma_f16 v28, v28, v33, v29 op_sel:[0,0,1] op_sel_hi:[1,0,0]
	v_bfi_b32 v28, s4, v32, v28
	s_waitcnt lgkmcnt(0)
	v_pk_mul_f16 v29, v12, v30 op_sel:[0,1]
	v_pk_fma_f16 v32, v12, v30, v29 op_sel:[0,0,1] op_sel_hi:[1,1,0] neg_lo:[0,0,1] neg_hi:[0,0,1]
	v_pk_fma_f16 v12, v12, v30, v29 op_sel:[0,0,1] op_sel_hi:[1,0,0]
	v_pk_mul_f16 v29, v13, v31 op_sel:[0,1]
	v_pk_fma_f16 v30, v13, v31, v29 op_sel:[0,0,1] op_sel_hi:[1,1,0] neg_lo:[0,0,1] neg_hi:[0,0,1]
	v_pk_fma_f16 v13, v13, v31, v29 op_sel:[0,0,1] op_sel_hi:[1,0,0]
	s_waitcnt vmcnt(0)
	v_pk_mul_f16 v29, v5, v11 op_sel:[0,1]
	v_bfi_b32 v13, s4, v30, v13
	v_pk_fma_f16 v30, v5, v11, v29 op_sel:[0,0,1] op_sel_hi:[1,1,0] neg_lo:[0,0,1] neg_hi:[0,0,1]
	v_pk_fma_f16 v5, v5, v11, v29 op_sel:[0,0,1] op_sel_hi:[1,0,0]
	v_bfi_b32 v12, s4, v32, v12
	v_bfi_b32 v5, s4, v30, v5
	v_pk_add_f16 v28, v17, v28 neg_lo:[0,1] neg_hi:[0,1]
	v_pk_add_f16 v12, v18, v12 neg_lo:[0,1] neg_hi:[0,1]
	;; [unrolled: 1-line block ×4, first 2 shown]
	v_pk_fma_f16 v16, v16, 2.0, v27 op_sel_hi:[1,0,1] neg_lo:[0,0,1] neg_hi:[0,0,1]
	v_pk_fma_f16 v17, v17, 2.0, v28 op_sel_hi:[1,0,1] neg_lo:[0,0,1] neg_hi:[0,0,1]
	;; [unrolled: 1-line block ×5, first 2 shown]
	s_barrier
	ds_write_b32 v23, v10
	ds_write_b32 v23, v1 offset:3840
	ds_write2st64_b32 v26, v11, v5 offset1:15
	ds_write2_b32 v44, v20, v24 offset0:112 offset1:232
	ds_write2_b32 v48, v14, v15 offset0:48 offset1:168
	;; [unrolled: 1-line block ×6, first 2 shown]
	s_waitcnt lgkmcnt(0)
	s_barrier
	ds_read_b32 v12, v21
	s_add_u32 s4, s8, 0x1dd8
	s_addc_u32 s5, s9, 0
	v_sub_u32_e32 v1, v25, v22
                                        ; implicit-def: $vgpr10
                                        ; implicit-def: $vgpr5
                                        ; implicit-def: $vgpr11
	s_and_saveexec_b64 s[2:3], s[0:1]
	s_xor_b64 s[2:3], exec, s[2:3]
	s_cbranch_execz .LBB0_21
; %bb.20:
	v_mov_b32_e32 v5, s5
	v_add_co_u32_e64 v10, s[0:1], s4, v6
	v_addc_co_u32_e64 v11, s[0:1], v5, v7, s[0:1]
	global_load_dword v5, v[10:11], off
	ds_read_b32 v10, v1 offset:7680
	s_mov_b32 s0, 0xffff
	s_waitcnt lgkmcnt(0)
	v_pk_add_f16 v11, v12, v10 neg_lo:[0,1] neg_hi:[0,1]
	v_pk_add_f16 v10, v10, v12
	v_bfi_b32 v12, s0, v11, v10
	v_bfi_b32 v10, s0, v10, v11
	v_pk_mul_f16 v11, v12, 0.5 op_sel_hi:[1,0]
	v_pk_mul_f16 v12, v10, 0.5 op_sel_hi:[1,0]
	s_waitcnt vmcnt(0)
	v_pk_mul_f16 v13, v5, v11 op_sel:[1,0]
	v_pk_mul_f16 v11, v5, v11 op_sel_hi:[0,1]
	v_pk_fma_f16 v5, v10, 0.5, v13 op_sel_hi:[1,0,1]
	v_sub_f16_e32 v10, v12, v13
	v_sub_f16_sdwa v12, v13, v12 dst_sel:DWORD dst_unused:UNUSED_PAD src0_sel:WORD_1 src1_sel:WORD_1
	v_pk_add_f16 v13, v5, v11 op_sel:[0,1] op_sel_hi:[1,0]
	v_pk_add_f16 v14, v5, v11 op_sel:[0,1] op_sel_hi:[1,0] neg_lo:[0,1] neg_hi:[0,1]
	v_sub_f16_sdwa v5, v10, v11 dst_sel:DWORD dst_unused:UNUSED_PAD src0_sel:DWORD src1_sel:WORD_1
	v_bfi_b32 v10, s0, v13, v14
	v_sub_f16_e32 v11, v12, v11
                                        ; implicit-def: $vgpr12
.LBB0_21:
	s_andn2_saveexec_b64 s[0:1], s[2:3]
	s_cbranch_execz .LBB0_23
; %bb.22:
	ds_read_u16 v11, v25 offset:3842
	s_waitcnt lgkmcnt(1)
	v_alignbit_b32 v10, s0, v12, 16
	v_pk_add_f16 v10, v10, v12
	v_sub_f16_sdwa v5, v12, v12 dst_sel:DWORD dst_unused:UNUSED_PAD src0_sel:DWORD src1_sel:WORD_1
	v_pack_b32_f16 v10, v10, 0
	s_waitcnt lgkmcnt(0)
	v_xor_b32_e32 v11, 0x8000, v11
	ds_write_b16 v25, v11 offset:3842
	v_mov_b32_e32 v11, 0
.LBB0_23:
	s_or_b64 exec, exec, s[0:1]
	s_waitcnt lgkmcnt(0)
	v_mov_b32_e32 v12, s5
	v_add_co_u32_e64 v8, s[0:1], s4, v8
	v_addc_co_u32_e64 v9, s[0:1], v12, v9, s[0:1]
	global_load_dword v12, v[8:9], off
	v_mov_b32_e32 v9, s5
	v_add_co_u32_e64 v8, s[0:1], s4, v6
	v_addc_co_u32_e64 v9, s[0:1], v9, v7, s[0:1]
	global_load_dword v13, v[8:9], off offset:960
	global_load_dword v14, v[8:9], off offset:1440
	ds_write_b16 v1, v11 offset:7682
	ds_write_b32 v21, v10
	ds_write_b16 v1, v5 offset:7680
	v_lshl_add_u32 v4, v4, 2, v25
	ds_read_b32 v5, v4
	ds_read_b32 v10, v1 offset:7200
	global_load_dword v11, v[8:9], off offset:1920
	global_load_dword v15, v[8:9], off offset:2400
	;; [unrolled: 1-line block ×4, first 2 shown]
	s_mov_b32 s0, 0xffff
	s_waitcnt lgkmcnt(0)
	v_pk_add_f16 v8, v5, v10 neg_lo:[0,1] neg_hi:[0,1]
	v_pk_add_f16 v5, v5, v10
	v_bfi_b32 v9, s0, v8, v5
	v_bfi_b32 v5, s0, v5, v8
	v_pk_mul_f16 v8, v9, 0.5 op_sel_hi:[1,0]
	v_pk_mul_f16 v5, v5, 0.5 op_sel_hi:[1,0]
	s_waitcnt vmcnt(6)
	v_pk_fma_f16 v9, v12, v8, v5 op_sel:[1,0,0]
	v_pk_mul_f16 v10, v12, v8 op_sel_hi:[0,1]
	v_pk_fma_f16 v18, v12, v8, v5 op_sel:[1,0,0] neg_lo:[1,0,0] neg_hi:[1,0,0]
	v_pk_fma_f16 v5, v12, v8, v5 op_sel:[1,0,0] neg_lo:[0,0,1] neg_hi:[0,0,1]
	v_pk_add_f16 v8, v9, v10 op_sel:[0,1] op_sel_hi:[1,0]
	v_pk_add_f16 v9, v9, v10 op_sel:[0,1] op_sel_hi:[1,0] neg_lo:[0,1] neg_hi:[0,1]
	v_pk_add_f16 v12, v18, v10 op_sel:[0,1] op_sel_hi:[1,0] neg_lo:[0,1] neg_hi:[0,1]
	;; [unrolled: 1-line block ×3, first 2 shown]
	v_bfi_b32 v8, s0, v8, v9
	v_bfi_b32 v5, s0, v12, v5
	ds_write_b32 v4, v8
	ds_write_b32 v1, v5 offset:7200
	ds_read_b32 v4, v21 offset:960
	ds_read_b32 v5, v1 offset:6720
	s_waitcnt lgkmcnt(0)
	v_pk_add_f16 v8, v4, v5 neg_lo:[0,1] neg_hi:[0,1]
	v_pk_add_f16 v4, v4, v5
	v_bfi_b32 v5, s0, v8, v4
	v_bfi_b32 v4, s0, v4, v8
	v_pk_mul_f16 v5, v5, 0.5 op_sel_hi:[1,0]
	v_pk_mul_f16 v8, v4, 0.5 op_sel_hi:[1,0]
	s_waitcnt vmcnt(5)
	v_pk_mul_f16 v9, v13, v5 op_sel:[1,0]
	v_pk_mul_f16 v5, v13, v5 op_sel_hi:[0,1]
	v_pk_fma_f16 v4, v4, 0.5, v9 op_sel_hi:[1,0,1]
	v_sub_f16_e32 v10, v8, v9
	v_sub_f16_sdwa v8, v9, v8 dst_sel:DWORD dst_unused:UNUSED_PAD src0_sel:WORD_1 src1_sel:WORD_1
	v_pk_add_f16 v9, v4, v5 op_sel:[0,1] op_sel_hi:[1,0]
	v_pk_add_f16 v4, v4, v5 op_sel:[0,1] op_sel_hi:[1,0] neg_lo:[0,1] neg_hi:[0,1]
	v_sub_f16_sdwa v10, v10, v5 dst_sel:DWORD dst_unused:UNUSED_PAD src0_sel:DWORD src1_sel:WORD_1
	v_sub_f16_e32 v5, v8, v5
	v_bfi_b32 v4, s0, v9, v4
	ds_write_b16 v1, v5 offset:6722
	ds_write_b32 v21, v4 offset:960
	ds_write_b16 v1, v10 offset:6720
	ds_read_b32 v4, v21 offset:1440
	ds_read_b32 v5, v1 offset:6240
	s_waitcnt lgkmcnt(0)
	v_pk_add_f16 v8, v4, v5 neg_lo:[0,1] neg_hi:[0,1]
	v_pk_add_f16 v4, v4, v5
	v_bfi_b32 v5, s0, v8, v4
	v_bfi_b32 v4, s0, v4, v8
	v_pk_mul_f16 v5, v5, 0.5 op_sel_hi:[1,0]
	v_pk_mul_f16 v8, v4, 0.5 op_sel_hi:[1,0]
	s_waitcnt vmcnt(4)
	v_pk_mul_f16 v9, v14, v5 op_sel:[1,0]
	v_pk_mul_f16 v5, v14, v5 op_sel_hi:[0,1]
	v_pk_fma_f16 v4, v4, 0.5, v9 op_sel_hi:[1,0,1]
	v_sub_f16_e32 v10, v8, v9
	v_sub_f16_sdwa v8, v9, v8 dst_sel:DWORD dst_unused:UNUSED_PAD src0_sel:WORD_1 src1_sel:WORD_1
	v_pk_add_f16 v9, v4, v5 op_sel:[0,1] op_sel_hi:[1,0]
	v_pk_add_f16 v4, v4, v5 op_sel:[0,1] op_sel_hi:[1,0] neg_lo:[0,1] neg_hi:[0,1]
	v_sub_f16_sdwa v10, v10, v5 dst_sel:DWORD dst_unused:UNUSED_PAD src0_sel:DWORD src1_sel:WORD_1
	v_sub_f16_e32 v5, v8, v5
	v_bfi_b32 v4, s0, v9, v4
	ds_write_b16 v1, v5 offset:6242
	ds_write_b32 v21, v4 offset:1440
	ds_write_b16 v1, v10 offset:6240
	;; [unrolled: 23-line block ×5, first 2 shown]
	ds_read_b32 v4, v21 offset:3360
	ds_read_b32 v5, v1 offset:4320
	s_waitcnt lgkmcnt(0)
	v_pk_add_f16 v8, v4, v5 neg_lo:[0,1] neg_hi:[0,1]
	v_pk_add_f16 v4, v4, v5
	v_bfi_b32 v5, s0, v8, v4
	v_bfi_b32 v4, s0, v4, v8
	v_pk_mul_f16 v5, v5, 0.5 op_sel_hi:[1,0]
	v_pk_mul_f16 v4, v4, 0.5 op_sel_hi:[1,0]
	s_waitcnt vmcnt(0)
	v_pk_fma_f16 v8, v17, v5, v4 op_sel:[1,0,0]
	v_pk_mul_f16 v9, v17, v5 op_sel_hi:[0,1]
	v_pk_fma_f16 v10, v17, v5, v4 op_sel:[1,0,0] neg_lo:[1,0,0] neg_hi:[1,0,0]
	v_pk_fma_f16 v4, v17, v5, v4 op_sel:[1,0,0] neg_lo:[0,0,1] neg_hi:[0,0,1]
	v_pk_add_f16 v11, v8, v9 op_sel:[0,1] op_sel_hi:[1,0]
	v_pk_add_f16 v8, v8, v9 op_sel:[0,1] op_sel_hi:[1,0] neg_lo:[0,1] neg_hi:[0,1]
	v_pk_add_f16 v10, v10, v9 op_sel:[0,1] op_sel_hi:[1,0] neg_lo:[0,1] neg_hi:[0,1]
	v_pk_add_f16 v4, v4, v9 op_sel:[0,1] op_sel_hi:[1,0] neg_lo:[0,1] neg_hi:[0,1]
	v_bfi_b32 v8, s0, v11, v8
	v_bfi_b32 v4, s0, v10, v4
	ds_write_b32 v21, v8 offset:3360
	ds_write_b32 v1, v4 offset:4320
	s_waitcnt lgkmcnt(0)
	s_barrier
	s_and_saveexec_b64 s[0:1], vcc
	s_cbranch_execz .LBB0_26
; %bb.24:
	ds_read2_b32 v[4:5], v21 offset1:120
	v_mov_b32_e32 v1, s13
	v_add_co_u32_e32 v2, vcc, s12, v2
	v_addc_co_u32_e32 v1, vcc, v1, v3, vcc
	v_add_u32_e32 v3, 0x200, v21
	ds_read2_b32 v[8:9], v3 offset0:112 offset1:232
	v_add_co_u32_e32 v6, vcc, v2, v6
	v_addc_co_u32_e32 v7, vcc, v1, v7, vcc
	s_waitcnt lgkmcnt(1)
	global_store_dword v[6:7], v4, off
	global_store_dword v[6:7], v5, off offset:480
	s_waitcnt lgkmcnt(0)
	global_store_dword v[6:7], v8, off offset:960
	global_store_dword v[6:7], v9, off offset:1440
	v_add_u32_e32 v3, 0x600, v21
	ds_read2_b32 v[3:4], v3 offset0:96 offset1:216
	v_add_u32_e32 v5, 0xa00, v21
	ds_read2_b32 v[8:9], v5 offset0:80 offset1:200
	;; [unrolled: 2-line block ×3, first 2 shown]
	s_waitcnt lgkmcnt(2)
	global_store_dword v[6:7], v3, off offset:1920
	global_store_dword v[6:7], v4, off offset:2400
	s_waitcnt lgkmcnt(1)
	global_store_dword v[6:7], v8, off offset:2880
	global_store_dword v[6:7], v9, off offset:3360
	s_waitcnt lgkmcnt(0)
	global_store_dword v[6:7], v10, off offset:3840
	s_movk_i32 s0, 0x1000
	v_add_u32_e32 v5, 0x1200, v21
	v_add_co_u32_e32 v3, vcc, s0, v6
	ds_read2_b32 v[5:6], v5 offset0:48 offset1:168
	v_addc_co_u32_e32 v4, vcc, 0, v7, vcc
	v_add_u32_e32 v7, 0x1600, v21
	ds_read2_b32 v[7:8], v7 offset0:32 offset1:152
	v_add_u32_e32 v9, 0x1a00, v21
	s_movk_i32 s0, 0x77
	ds_read2_b32 v[9:10], v9 offset0:16 offset1:136
	v_cmp_eq_u32_e32 vcc, s0, v0
	global_store_dword v[3:4], v11, off offset:224
	s_waitcnt lgkmcnt(2)
	global_store_dword v[3:4], v5, off offset:704
	global_store_dword v[3:4], v6, off offset:1184
	s_waitcnt lgkmcnt(1)
	global_store_dword v[3:4], v7, off offset:1664
	;; [unrolled: 3-line block ×3, first 2 shown]
	global_store_dword v[3:4], v10, off offset:3104
	s_and_b64 exec, exec, vcc
	s_cbranch_execz .LBB0_26
; %bb.25:
	ds_read_b32 v3, v21 offset:7204
	v_add_co_u32_e32 v0, vcc, 0x1000, v2
	v_addc_co_u32_e32 v1, vcc, 0, v1, vcc
	s_waitcnt lgkmcnt(0)
	global_store_dword v[0:1], v3, off offset:3584
.LBB0_26:
	s_endpgm
	.section	.rodata,"a",@progbits
	.p2align	6, 0x0
	.amdhsa_kernel fft_rtc_fwd_len1920_factors_10_6_16_2_wgs_240_tpt_120_halfLds_half_ip_CI_unitstride_sbrr_R2C_dirReg
		.amdhsa_group_segment_fixed_size 0
		.amdhsa_private_segment_fixed_size 0
		.amdhsa_kernarg_size 88
		.amdhsa_user_sgpr_count 6
		.amdhsa_user_sgpr_private_segment_buffer 1
		.amdhsa_user_sgpr_dispatch_ptr 0
		.amdhsa_user_sgpr_queue_ptr 0
		.amdhsa_user_sgpr_kernarg_segment_ptr 1
		.amdhsa_user_sgpr_dispatch_id 0
		.amdhsa_user_sgpr_flat_scratch_init 0
		.amdhsa_user_sgpr_private_segment_size 0
		.amdhsa_uses_dynamic_stack 0
		.amdhsa_system_sgpr_private_segment_wavefront_offset 0
		.amdhsa_system_sgpr_workgroup_id_x 1
		.amdhsa_system_sgpr_workgroup_id_y 0
		.amdhsa_system_sgpr_workgroup_id_z 0
		.amdhsa_system_sgpr_workgroup_info 0
		.amdhsa_system_vgpr_workitem_id 0
		.amdhsa_next_free_vgpr 59
		.amdhsa_next_free_sgpr 22
		.amdhsa_reserve_vcc 1
		.amdhsa_reserve_flat_scratch 0
		.amdhsa_float_round_mode_32 0
		.amdhsa_float_round_mode_16_64 0
		.amdhsa_float_denorm_mode_32 3
		.amdhsa_float_denorm_mode_16_64 3
		.amdhsa_dx10_clamp 1
		.amdhsa_ieee_mode 1
		.amdhsa_fp16_overflow 0
		.amdhsa_exception_fp_ieee_invalid_op 0
		.amdhsa_exception_fp_denorm_src 0
		.amdhsa_exception_fp_ieee_div_zero 0
		.amdhsa_exception_fp_ieee_overflow 0
		.amdhsa_exception_fp_ieee_underflow 0
		.amdhsa_exception_fp_ieee_inexact 0
		.amdhsa_exception_int_div_zero 0
	.end_amdhsa_kernel
	.text
.Lfunc_end0:
	.size	fft_rtc_fwd_len1920_factors_10_6_16_2_wgs_240_tpt_120_halfLds_half_ip_CI_unitstride_sbrr_R2C_dirReg, .Lfunc_end0-fft_rtc_fwd_len1920_factors_10_6_16_2_wgs_240_tpt_120_halfLds_half_ip_CI_unitstride_sbrr_R2C_dirReg
                                        ; -- End function
	.section	.AMDGPU.csdata,"",@progbits
; Kernel info:
; codeLenInByte = 10832
; NumSgprs: 26
; NumVgprs: 59
; ScratchSize: 0
; MemoryBound: 0
; FloatMode: 240
; IeeeMode: 1
; LDSByteSize: 0 bytes/workgroup (compile time only)
; SGPRBlocks: 3
; VGPRBlocks: 14
; NumSGPRsForWavesPerEU: 26
; NumVGPRsForWavesPerEU: 59
; Occupancy: 4
; WaveLimiterHint : 1
; COMPUTE_PGM_RSRC2:SCRATCH_EN: 0
; COMPUTE_PGM_RSRC2:USER_SGPR: 6
; COMPUTE_PGM_RSRC2:TRAP_HANDLER: 0
; COMPUTE_PGM_RSRC2:TGID_X_EN: 1
; COMPUTE_PGM_RSRC2:TGID_Y_EN: 0
; COMPUTE_PGM_RSRC2:TGID_Z_EN: 0
; COMPUTE_PGM_RSRC2:TIDIG_COMP_CNT: 0
	.type	__hip_cuid_f746cdd1c39c4f32,@object ; @__hip_cuid_f746cdd1c39c4f32
	.section	.bss,"aw",@nobits
	.globl	__hip_cuid_f746cdd1c39c4f32
__hip_cuid_f746cdd1c39c4f32:
	.byte	0                               ; 0x0
	.size	__hip_cuid_f746cdd1c39c4f32, 1

	.ident	"AMD clang version 19.0.0git (https://github.com/RadeonOpenCompute/llvm-project roc-6.4.0 25133 c7fe45cf4b819c5991fe208aaa96edf142730f1d)"
	.section	".note.GNU-stack","",@progbits
	.addrsig
	.addrsig_sym __hip_cuid_f746cdd1c39c4f32
	.amdgpu_metadata
---
amdhsa.kernels:
  - .args:
      - .actual_access:  read_only
        .address_space:  global
        .offset:         0
        .size:           8
        .value_kind:     global_buffer
      - .offset:         8
        .size:           8
        .value_kind:     by_value
      - .actual_access:  read_only
        .address_space:  global
        .offset:         16
        .size:           8
        .value_kind:     global_buffer
      - .actual_access:  read_only
        .address_space:  global
        .offset:         24
        .size:           8
        .value_kind:     global_buffer
      - .offset:         32
        .size:           8
        .value_kind:     by_value
      - .actual_access:  read_only
        .address_space:  global
        .offset:         40
        .size:           8
        .value_kind:     global_buffer
      - .actual_access:  read_only
        .address_space:  global
        .offset:         48
        .size:           8
        .value_kind:     global_buffer
      - .offset:         56
        .size:           4
        .value_kind:     by_value
      - .actual_access:  read_only
        .address_space:  global
        .offset:         64
        .size:           8
        .value_kind:     global_buffer
      - .actual_access:  read_only
        .address_space:  global
        .offset:         72
        .size:           8
        .value_kind:     global_buffer
      - .address_space:  global
        .offset:         80
        .size:           8
        .value_kind:     global_buffer
    .group_segment_fixed_size: 0
    .kernarg_segment_align: 8
    .kernarg_segment_size: 88
    .language:       OpenCL C
    .language_version:
      - 2
      - 0
    .max_flat_workgroup_size: 240
    .name:           fft_rtc_fwd_len1920_factors_10_6_16_2_wgs_240_tpt_120_halfLds_half_ip_CI_unitstride_sbrr_R2C_dirReg
    .private_segment_fixed_size: 0
    .sgpr_count:     26
    .sgpr_spill_count: 0
    .symbol:         fft_rtc_fwd_len1920_factors_10_6_16_2_wgs_240_tpt_120_halfLds_half_ip_CI_unitstride_sbrr_R2C_dirReg.kd
    .uniform_work_group_size: 1
    .uses_dynamic_stack: false
    .vgpr_count:     59
    .vgpr_spill_count: 0
    .wavefront_size: 64
amdhsa.target:   amdgcn-amd-amdhsa--gfx906
amdhsa.version:
  - 1
  - 2
...

	.end_amdgpu_metadata
